;; amdgpu-corpus repo=ROCm/rocFFT kind=compiled arch=gfx950 opt=O3
	.text
	.amdgcn_target "amdgcn-amd-amdhsa--gfx950"
	.amdhsa_code_object_version 6
	.protected	bluestein_single_back_len845_dim1_dp_op_CI_CI ; -- Begin function bluestein_single_back_len845_dim1_dp_op_CI_CI
	.globl	bluestein_single_back_len845_dim1_dp_op_CI_CI
	.p2align	8
	.type	bluestein_single_back_len845_dim1_dp_op_CI_CI,@function
bluestein_single_back_len845_dim1_dp_op_CI_CI: ; @bluestein_single_back_len845_dim1_dp_op_CI_CI
; %bb.0:
	s_load_dwordx4 s[16:19], s[0:1], 0x28
	v_mul_u32_u24_e32 v1, 0x3f1, v0
	v_lshrrev_b32_e32 v2, 16, v1
	v_mad_u64_u32 v[210:211], s[2:3], s2, 3, v[2:3]
	v_mov_b32_e32 v211, 0
	s_waitcnt lgkmcnt(0)
	v_cmp_gt_u64_e32 vcc, s[16:17], v[210:211]
	s_and_saveexec_b64 s[2:3], vcc
	s_cbranch_execz .LBB0_10
; %bb.1:
	s_load_dwordx4 s[12:15], s[0:1], 0x18
	s_load_dwordx4 s[8:11], s[0:1], 0x0
	v_mul_lo_u16_e32 v1, 0x41, v2
	v_sub_u16_e32 v208, v0, v1
	v_mov_b32_e32 v4, s18
	s_waitcnt lgkmcnt(0)
	s_load_dwordx4 s[4:7], s[12:13], 0x0
	v_mov_b32_e32 v5, s19
	v_lshlrev_b32_e32 v160, 4, v208
	v_mov_b32_e32 v161, v211
	v_lshl_add_u64 v[44:45], s[8:9], 0, v[160:161]
	s_waitcnt lgkmcnt(0)
	v_mad_u64_u32 v[0:1], s[2:3], s6, v210, 0
	v_mov_b32_e32 v2, v1
	v_mad_u64_u32 v[2:3], s[2:3], s7, v210, v[2:3]
	v_mov_b32_e32 v1, v2
	v_mad_u64_u32 v[2:3], s[2:3], s4, v208, 0
	v_mov_b32_e32 v6, v3
	v_mad_u64_u32 v[6:7], s[2:3], s5, v208, v[6:7]
	v_mov_b32_e32 v3, v6
	v_lshl_add_u64 v[0:1], v[0:1], 4, v[4:5]
	v_lshl_add_u64 v[0:1], v[2:3], 4, v[0:1]
	v_mov_b32_e32 v2, 0x410
	v_mad_u64_u32 v[8:9], s[2:3], s4, v2, v[0:1]
	s_mul_i32 s2, s5, 0x410
	s_nop 0
	v_add_u32_e32 v9, s2, v9
	global_load_dwordx4 v[52:55], v[0:1], off
	v_mad_u64_u32 v[10:11], s[6:7], s4, v2, v[8:9]
	global_load_dwordx4 v[106:109], v160, s[8:9]
	global_load_dwordx4 v[4:7], v160, s[8:9] offset:1040
	v_add_u32_e32 v11, s2, v11
	v_mad_u64_u32 v[16:17], s[6:7], s4, v2, v[10:11]
	global_load_dwordx4 v[60:63], v[8:9], off
	global_load_dwordx4 v[56:59], v[10:11], off
	v_add_u32_e32 v17, s2, v17
	v_mad_u64_u32 v[18:19], s[6:7], s4, v2, v[16:17]
	global_load_dwordx4 v[12:15], v160, s[8:9] offset:2080
	global_load_dwordx4 v[8:11], v160, s[8:9] offset:3120
	v_add_u32_e32 v19, s2, v19
	s_movk_i32 s3, 0x1000
	v_mad_u64_u32 v[20:21], s[6:7], s4, v2, v[18:19]
	global_load_dwordx4 v[68:71], v[16:17], off
	global_load_dwordx4 v[64:67], v[18:19], off
	v_add_co_u32_e32 v32, vcc, s3, v44
	v_add_u32_e32 v21, s2, v21
	s_nop 0
	v_addc_co_u32_e32 v33, vcc, 0, v45, vcc
	global_load_dwordx4 v[72:75], v[20:21], off
	global_load_dwordx4 v[24:27], v[32:33], off offset:64
	global_load_dwordx4 v[16:19], v[32:33], off offset:1104
	v_mad_u64_u32 v[20:21], s[6:7], s4, v2, v[20:21]
	v_add_u32_e32 v21, s2, v21
	v_mad_u64_u32 v[34:35], s[6:7], s4, v2, v[20:21]
	v_add_u32_e32 v35, s2, v35
	global_load_dwordx4 v[76:79], v[20:21], off
	global_load_dwordx4 v[80:83], v[34:35], off
	global_load_dwordx4 v[28:31], v[32:33], off offset:2144
	s_nop 0
	global_load_dwordx4 v[20:23], v[32:33], off offset:3184
	v_mad_u64_u32 v[32:33], s[6:7], s4, v2, v[34:35]
	v_add_u32_e32 v33, s2, v33
	s_movk_i32 s3, 0x2000
	v_mad_u64_u32 v[36:37], s[6:7], s4, v2, v[32:33]
	v_add_co_u32_e32 v46, vcc, s3, v44
	v_add_u32_e32 v37, s2, v37
	global_load_dwordx4 v[84:87], v[32:33], off
	v_addc_co_u32_e32 v47, vcc, 0, v45, vcc
	global_load_dwordx4 v[88:91], v[36:37], off
	global_load_dwordx4 v[40:43], v[46:47], off offset:128
	global_load_dwordx4 v[32:35], v[46:47], off offset:1168
	v_mad_u64_u32 v[36:37], s[6:7], s4, v2, v[36:37]
	v_add_u32_e32 v37, s2, v37
	v_mad_u64_u32 v[100:101], s[6:7], s4, v2, v[36:37]
	v_add_u32_e32 v101, s2, v101
	global_load_dwordx4 v[92:95], v[36:37], off
	global_load_dwordx4 v[96:99], v[100:101], off
	global_load_dwordx4 v[48:51], v[46:47], off offset:2208
	s_nop 0
	global_load_dwordx4 v[36:39], v[46:47], off offset:3248
	v_mad_u64_u32 v[46:47], s[4:5], s4, v2, v[100:101]
	v_add_u32_e32 v47, s2, v47
	s_movk_i32 s2, 0x3000
	v_add_co_u32_e32 v44, vcc, s2, v44
	global_load_dwordx4 v[100:103], v[46:47], off
	s_nop 0
	v_addc_co_u32_e32 v45, vcc, 0, v45, vcc
	global_load_dwordx4 v[44:47], v[44:45], off offset:192
	s_load_dwordx2 s[2:3], s[0:1], 0x38
	s_load_dwordx4 s[4:7], s[14:15], 0x0
	s_mov_b32 s0, 0xaaaaaaab
	v_mul_hi_u32 v0, v210, s0
	v_lshrrev_b32_e32 v0, 1, v0
	v_lshl_add_u32 v0, v0, 1, v0
	v_sub_u32_e32 v0, v210, v0
	v_mul_u32_u24_e32 v0, 0x34d, v0
	v_lshlrev_b32_e32 v211, 4, v0
	v_add_u32_e32 v209, v160, v211
	s_mov_b32 s34, 0x42a4c3d2
	s_mov_b32 s36, 0x66966769
	;; [unrolled: 1-line block ×11, first 2 shown]
	s_waitcnt vmcnt(24)
	v_mul_f64 v[104:105], v[54:55], v[108:109]
	v_fmac_f64_e32 v[104:105], v[52:53], v[106:107]
	v_mul_f64 v[52:53], v[52:53], v[108:109]
	v_accvgpr_write_b32 a4, v106
	v_accvgpr_write_b32 a5, v107
	;; [unrolled: 1-line block ×4, first 2 shown]
	v_fma_f64 v[106:107], v[54:55], v[106:107], -v[52:53]
	s_waitcnt vmcnt(22)
	v_mul_f64 v[52:53], v[62:63], v[6:7]
	v_mul_f64 v[54:55], v[60:61], v[6:7]
	v_fmac_f64_e32 v[52:53], v[60:61], v[4:5]
	v_fma_f64 v[54:55], v[62:63], v[4:5], -v[54:55]
	ds_write_b128 v209, v[52:55] offset:1040
	s_waitcnt vmcnt(20)
	v_mul_f64 v[52:53], v[58:59], v[14:15]
	v_mul_f64 v[54:55], v[56:57], v[14:15]
	v_fmac_f64_e32 v[52:53], v[56:57], v[12:13]
	v_fma_f64 v[54:55], v[58:59], v[12:13], -v[54:55]
	ds_write_b128 v209, v[52:55] offset:2080
	;; [unrolled: 6-line block ×11, first 2 shown]
	s_waitcnt vmcnt(0)
	v_mul_f64 v[52:53], v[102:103], v[46:47]
	v_mul_f64 v[54:55], v[100:101], v[46:47]
	v_fmac_f64_e32 v[52:53], v[100:101], v[44:45]
	v_fma_f64 v[54:55], v[102:103], v[44:45], -v[54:55]
	ds_write_b128 v209, v[104:107]
	ds_write_b128 v209, v[52:55] offset:12480
	s_waitcnt lgkmcnt(0)
	s_barrier
	ds_read_b128 v[92:95], v209
	ds_read_b128 v[96:99], v209 offset:1040
	ds_read_b128 v[88:91], v209 offset:2080
	;; [unrolled: 1-line block ×12, first 2 shown]
	s_waitcnt lgkmcnt(11)
	v_add_f64 v[52:53], v[92:93], v[96:97]
	v_add_f64 v[54:55], v[94:95], v[98:99]
	s_waitcnt lgkmcnt(10)
	v_add_f64 v[52:53], v[52:53], v[88:89]
	v_add_f64 v[54:55], v[54:55], v[90:91]
	;; [unrolled: 3-line block ×10, first 2 shown]
	s_waitcnt lgkmcnt(1)
	v_add_f64 v[52:53], v[52:53], v[100:101]
	s_waitcnt lgkmcnt(0)
	v_add_f64 v[110:111], v[98:99], v[106:107]
	v_add_f64 v[98:99], v[98:99], -v[106:107]
	s_mov_b32 s0, 0xebaa3ed8
	s_mov_b32 s15, 0xbfedeba7
	;; [unrolled: 1-line block ×7, first 2 shown]
	v_add_f64 v[54:55], v[54:55], v[102:103]
	v_add_f64 v[52:53], v[52:53], v[104:105]
	;; [unrolled: 1-line block ×3, first 2 shown]
	v_add_f64 v[96:97], v[96:97], -v[104:105]
	v_mul_f64 v[104:105], v[98:99], s[26:27]
	s_mov_b32 s21, 0x3fec55a7
	v_mul_f64 v[116:117], v[98:99], s[34:35]
	s_mov_b32 s17, 0x3fe22d96
	;; [unrolled: 2-line block ×6, first 2 shown]
	v_add_f64 v[54:55], v[54:55], v[106:107]
	v_fma_f64 v[106:107], v[108:109], s[20:21], -v[104:105]
	v_mul_f64 v[112:113], v[96:97], s[26:27]
	v_fmac_f64_e32 v[104:105], s[20:21], v[108:109]
	v_fma_f64 v[118:119], v[108:109], s[16:17], -v[116:117]
	v_mul_f64 v[120:121], v[96:97], s[34:35]
	v_fmac_f64_e32 v[116:117], s[16:17], v[108:109]
	v_fma_f64 v[126:127], v[108:109], s[0:1], -v[124:125]
	v_mul_f64 v[128:129], v[96:97], s[36:37]
	v_fmac_f64_e32 v[124:125], s[0:1], v[108:109]
	v_fma_f64 v[134:135], v[108:109], s[12:13], -v[132:133]
	v_mul_f64 v[136:137], v[96:97], s[14:15]
	v_fmac_f64_e32 v[132:133], s[12:13], v[108:109]
	v_fma_f64 v[142:143], v[108:109], s[18:19], -v[140:141]
	v_mul_f64 v[144:145], v[96:97], s[24:25]
	v_fmac_f64_e32 v[140:141], s[18:19], v[108:109]
	v_fma_f64 v[148:149], v[108:109], s[28:29], -v[98:99]
	v_mul_f64 v[96:97], v[96:97], s[30:31]
	v_fmac_f64_e32 v[98:99], s[28:29], v[108:109]
	v_add_f64 v[106:107], v[92:93], v[106:107]
	v_fma_f64 v[114:115], s[20:21], v[110:111], v[112:113]
	v_add_f64 v[104:105], v[92:93], v[104:105]
	v_fma_f64 v[112:113], v[110:111], s[20:21], -v[112:113]
	v_add_f64 v[118:119], v[92:93], v[118:119]
	v_fma_f64 v[122:123], s[16:17], v[110:111], v[120:121]
	v_add_f64 v[116:117], v[92:93], v[116:117]
	v_fma_f64 v[120:121], v[110:111], s[16:17], -v[120:121]
	;; [unrolled: 4-line block ×6, first 2 shown]
	v_add_f64 v[98:99], v[90:91], v[102:103]
	v_add_f64 v[90:91], v[90:91], -v[102:103]
	v_add_f64 v[114:115], v[94:95], v[114:115]
	v_add_f64 v[112:113], v[94:95], v[112:113]
	;; [unrolled: 1-line block ×13, first 2 shown]
	v_add_f64 v[88:89], v[88:89], -v[100:101]
	v_mul_f64 v[100:101], v[90:91], s[34:35]
	v_fma_f64 v[102:103], v[96:97], s[16:17], -v[100:101]
	v_add_f64 v[102:103], v[102:103], v[106:107]
	v_mul_f64 v[106:107], v[88:89], s[34:35]
	v_fmac_f64_e32 v[100:101], s[16:17], v[96:97]
	v_fma_f64 v[108:109], s[16:17], v[98:99], v[106:107]
	v_add_f64 v[100:101], v[100:101], v[104:105]
	v_fma_f64 v[104:105], v[98:99], s[16:17], -v[106:107]
	v_mul_f64 v[106:107], v[90:91], s[14:15]
	v_add_f64 v[104:105], v[104:105], v[112:113]
	v_fma_f64 v[110:111], v[96:97], s[12:13], -v[106:107]
	v_mul_f64 v[112:113], v[88:89], s[14:15]
	v_fmac_f64_e32 v[106:107], s[12:13], v[96:97]
	v_add_f64 v[108:109], v[108:109], v[114:115]
	v_fma_f64 v[114:115], s[12:13], v[98:99], v[112:113]
	v_add_f64 v[106:107], v[106:107], v[116:117]
	v_fma_f64 v[112:113], v[98:99], s[12:13], -v[112:113]
	v_mul_f64 v[116:117], v[90:91], s[30:31]
	v_add_f64 v[110:111], v[110:111], v[118:119]
	v_add_f64 v[112:113], v[112:113], v[120:121]
	v_fma_f64 v[118:119], v[96:97], s[28:29], -v[116:117]
	v_mul_f64 v[120:121], v[88:89], s[30:31]
	v_fmac_f64_e32 v[116:117], s[28:29], v[96:97]
	s_mov_b32 s39, 0x3fe5384d
	s_mov_b32 s38, s24
	v_add_f64 v[114:115], v[114:115], v[122:123]
	v_fma_f64 v[122:123], s[28:29], v[98:99], v[120:121]
	v_add_f64 v[116:117], v[116:117], v[124:125]
	v_fma_f64 v[120:121], v[98:99], s[28:29], -v[120:121]
	v_mul_f64 v[124:125], v[90:91], s[38:39]
	v_add_f64 v[118:119], v[118:119], v[126:127]
	v_add_f64 v[120:121], v[120:121], v[128:129]
	v_fma_f64 v[126:127], v[96:97], s[18:19], -v[124:125]
	v_mul_f64 v[128:129], v[88:89], s[38:39]
	v_fmac_f64_e32 v[124:125], s[18:19], v[96:97]
	s_mov_b32 s23, 0x3fefc445
	s_mov_b32 s22, s36
	v_add_f64 v[122:123], v[122:123], v[130:131]
	v_fma_f64 v[130:131], s[18:19], v[98:99], v[128:129]
	v_add_f64 v[124:125], v[124:125], v[132:133]
	v_fma_f64 v[128:129], v[98:99], s[18:19], -v[128:129]
	v_mul_f64 v[132:133], v[90:91], s[22:23]
	s_mov_b32 s27, 0x3fddbe06
	v_add_f64 v[126:127], v[126:127], v[134:135]
	v_add_f64 v[128:129], v[128:129], v[136:137]
	v_fma_f64 v[134:135], v[96:97], s[0:1], -v[132:133]
	v_mul_f64 v[136:137], v[88:89], s[22:23]
	v_mul_f64 v[88:89], v[88:89], s[26:27]
	v_add_f64 v[134:135], v[134:135], v[142:143]
	v_fmac_f64_e32 v[132:133], s[0:1], v[96:97]
	v_mul_f64 v[90:91], v[90:91], s[26:27]
	v_fma_f64 v[142:143], s[20:21], v[98:99], v[88:89]
	v_fma_f64 v[88:89], v[98:99], s[20:21], -v[88:89]
	v_add_f64 v[132:133], v[132:133], v[140:141]
	v_fma_f64 v[140:141], v[96:97], s[20:21], -v[90:91]
	v_fmac_f64_e32 v[90:91], s[20:21], v[96:97]
	v_add_f64 v[88:89], v[88:89], v[94:95]
	v_add_f64 v[94:95], v[82:83], v[86:87]
	v_add_f64 v[82:83], v[82:83], -v[86:87]
	v_add_f64 v[90:91], v[90:91], v[92:93]
	v_add_f64 v[92:93], v[80:81], v[84:85]
	v_add_f64 v[80:81], v[80:81], -v[84:85]
	v_mul_f64 v[84:85], v[82:83], s[36:37]
	v_fma_f64 v[86:87], v[92:93], s[0:1], -v[84:85]
	v_fmac_f64_e32 v[84:85], s[0:1], v[92:93]
	v_mul_f64 v[96:97], v[80:81], s[36:37]
	v_add_f64 v[84:85], v[84:85], v[100:101]
	v_mul_f64 v[100:101], v[82:83], s[30:31]
	v_add_f64 v[130:131], v[130:131], v[138:139]
	v_fma_f64 v[138:139], s[0:1], v[98:99], v[136:137]
	v_fma_f64 v[136:137], v[98:99], s[0:1], -v[136:137]
	v_add_f64 v[86:87], v[86:87], v[102:103]
	v_fma_f64 v[98:99], s[0:1], v[94:95], v[96:97]
	v_fma_f64 v[96:97], v[94:95], s[0:1], -v[96:97]
	v_fma_f64 v[102:103], v[92:93], s[28:29], -v[100:101]
	v_fmac_f64_e32 v[100:101], s[28:29], v[92:93]
	s_mov_b32 s41, 0x3fedeba7
	s_mov_b32 s40, s14
	v_add_f64 v[96:97], v[96:97], v[104:105]
	v_mul_f64 v[104:105], v[80:81], s[30:31]
	v_add_f64 v[100:101], v[100:101], v[106:107]
	v_mul_f64 v[106:107], v[82:83], s[40:41]
	v_add_f64 v[98:99], v[98:99], v[108:109]
	v_add_f64 v[102:103], v[102:103], v[110:111]
	v_fma_f64 v[108:109], s[28:29], v[94:95], v[104:105]
	v_fma_f64 v[104:105], v[94:95], s[28:29], -v[104:105]
	v_fma_f64 v[110:111], v[92:93], s[12:13], -v[106:107]
	v_fmac_f64_e32 v[106:107], s[12:13], v[92:93]
	v_add_f64 v[104:105], v[104:105], v[112:113]
	v_mul_f64 v[112:113], v[80:81], s[40:41]
	v_add_f64 v[106:107], v[106:107], v[116:117]
	v_mul_f64 v[116:117], v[82:83], s[26:27]
	v_add_f64 v[108:109], v[108:109], v[114:115]
	v_add_f64 v[110:111], v[110:111], v[118:119]
	v_fma_f64 v[114:115], s[12:13], v[94:95], v[112:113]
	v_fma_f64 v[112:113], v[94:95], s[12:13], -v[112:113]
	v_fma_f64 v[118:119], v[92:93], s[20:21], -v[116:117]
	v_fmac_f64_e32 v[116:117], s[20:21], v[92:93]
	v_add_f64 v[112:113], v[112:113], v[120:121]
	v_mul_f64 v[120:121], v[80:81], s[26:27]
	v_add_f64 v[116:117], v[116:117], v[124:125]
	v_mul_f64 v[124:125], v[82:83], s[34:35]
	v_add_f64 v[114:115], v[114:115], v[122:123]
	v_add_f64 v[118:119], v[118:119], v[126:127]
	v_fma_f64 v[122:123], s[20:21], v[94:95], v[120:121]
	v_fma_f64 v[120:121], v[94:95], s[20:21], -v[120:121]
	v_fma_f64 v[126:127], v[92:93], s[16:17], -v[124:125]
	v_fmac_f64_e32 v[124:125], s[16:17], v[92:93]
	v_mul_f64 v[82:83], v[82:83], s[24:25]
	v_add_f64 v[120:121], v[120:121], v[128:129]
	v_mul_f64 v[128:129], v[80:81], s[34:35]
	v_add_f64 v[124:125], v[124:125], v[132:133]
	v_fma_f64 v[132:133], v[92:93], s[18:19], -v[82:83]
	v_mul_f64 v[80:81], v[80:81], s[24:25]
	v_fmac_f64_e32 v[82:83], s[18:19], v[92:93]
	v_add_f64 v[126:127], v[126:127], v[134:135]
	v_fma_f64 v[134:135], s[18:19], v[94:95], v[80:81]
	v_add_f64 v[82:83], v[82:83], v[90:91]
	v_fma_f64 v[80:81], v[94:95], s[18:19], -v[80:81]
	v_add_f64 v[90:91], v[74:75], v[78:79]
	v_add_f64 v[74:75], v[74:75], -v[78:79]
	v_add_f64 v[80:81], v[80:81], v[88:89]
	v_add_f64 v[88:89], v[72:73], v[76:77]
	v_add_f64 v[72:73], v[72:73], -v[76:77]
	v_mul_f64 v[76:77], v[74:75], s[14:15]
	v_fma_f64 v[78:79], v[88:89], s[12:13], -v[76:77]
	v_add_f64 v[78:79], v[78:79], v[86:87]
	v_mul_f64 v[86:87], v[72:73], s[14:15]
	v_fmac_f64_e32 v[76:77], s[12:13], v[88:89]
	v_add_f64 v[76:77], v[76:77], v[84:85]
	v_fma_f64 v[84:85], v[90:91], s[12:13], -v[86:87]
	v_fma_f64 v[92:93], s[12:13], v[90:91], v[86:87]
	v_add_f64 v[84:85], v[84:85], v[96:97]
	v_mul_f64 v[96:97], v[72:73], s[38:39]
	v_add_f64 v[92:93], v[92:93], v[98:99]
	v_mul_f64 v[86:87], v[74:75], s[38:39]
	v_fma_f64 v[98:99], s[18:19], v[90:91], v[96:97]
	v_fma_f64 v[96:97], v[90:91], s[18:19], -v[96:97]
	v_add_f64 v[122:123], v[122:123], v[130:131]
	v_fma_f64 v[130:131], s[16:17], v[94:95], v[128:129]
	v_fma_f64 v[128:129], v[94:95], s[16:17], -v[128:129]
	v_fma_f64 v[94:95], v[88:89], s[18:19], -v[86:87]
	v_fmac_f64_e32 v[86:87], s[18:19], v[88:89]
	v_add_f64 v[96:97], v[96:97], v[104:105]
	v_mul_f64 v[104:105], v[72:73], s[26:27]
	v_add_f64 v[136:137], v[136:137], v[144:145]
	v_add_f64 v[98:99], v[98:99], v[108:109]
	;; [unrolled: 1-line block ×3, first 2 shown]
	v_mul_f64 v[100:101], v[74:75], s[26:27]
	v_fma_f64 v[108:109], s[20:21], v[90:91], v[104:105]
	v_fma_f64 v[104:105], v[90:91], s[20:21], -v[104:105]
	v_add_f64 v[128:129], v[128:129], v[136:137]
	v_add_f64 v[94:95], v[94:95], v[102:103]
	v_fma_f64 v[102:103], v[88:89], s[20:21], -v[100:101]
	v_fmac_f64_e32 v[100:101], s[20:21], v[88:89]
	v_add_f64 v[136:137], v[104:105], v[112:113]
	v_mul_f64 v[104:105], v[74:75], s[36:37]
	v_add_f64 v[100:101], v[100:101], v[106:107]
	v_fma_f64 v[106:107], v[88:89], s[0:1], -v[104:105]
	v_add_f64 v[118:119], v[106:107], v[118:119]
	v_mul_f64 v[106:107], v[72:73], s[36:37]
	v_fmac_f64_e32 v[104:105], s[0:1], v[88:89]
	v_add_f64 v[142:143], v[142:143], v[150:151]
	v_add_f64 v[116:117], v[104:105], v[116:117]
	v_fma_f64 v[104:105], v[90:91], s[0:1], -v[106:107]
	s_mov_b32 s39, 0x3fcea1e5
	s_mov_b32 s38, s30
	v_add_f64 v[140:141], v[140:141], v[148:149]
	v_add_f64 v[134:135], v[134:135], v[142:143]
	;; [unrolled: 1-line block ×3, first 2 shown]
	v_mul_f64 v[104:105], v[74:75], s[38:39]
	v_add_f64 v[142:143], v[66:67], v[70:71]
	v_add_f64 v[66:67], v[66:67], -v[70:71]
	v_add_f64 v[132:133], v[132:133], v[140:141]
	v_add_f64 v[102:103], v[102:103], v[110:111]
	v_fma_f64 v[110:111], s[0:1], v[90:91], v[106:107]
	v_fma_f64 v[106:107], v[88:89], s[28:29], -v[104:105]
	v_add_f64 v[140:141], v[64:65], v[68:69]
	v_add_f64 v[64:65], v[64:65], -v[68:69]
	v_mul_f64 v[68:69], v[66:67], s[24:25]
	v_add_f64 v[126:127], v[106:107], v[126:127]
	v_mul_f64 v[106:107], v[72:73], s[38:39]
	v_fmac_f64_e32 v[104:105], s[28:29], v[88:89]
	s_mov_b32 s37, 0x3fea55e2
	s_mov_b32 s36, s34
	v_fma_f64 v[70:71], v[140:141], s[18:19], -v[68:69]
	v_add_f64 v[124:125], v[104:105], v[124:125]
	v_fma_f64 v[104:105], v[90:91], s[28:29], -v[106:107]
	v_mul_f64 v[74:75], v[74:75], s[36:37]
	v_add_f64 v[144:145], v[70:71], v[78:79]
	v_mul_f64 v[70:71], v[64:65], s[24:25]
	v_fmac_f64_e32 v[68:69], s[18:19], v[140:141]
	v_add_f64 v[128:129], v[104:105], v[128:129]
	v_fma_f64 v[104:105], v[88:89], s[16:17], -v[74:75]
	v_mul_f64 v[72:73], v[72:73], s[36:37]
	v_add_f64 v[148:149], v[68:69], v[76:77]
	v_fma_f64 v[68:69], v[142:143], s[18:19], -v[70:71]
	v_add_f64 v[132:133], v[104:105], v[132:133]
	v_fma_f64 v[104:105], s[16:17], v[90:91], v[72:73]
	v_fma_f64 v[72:73], v[90:91], s[16:17], -v[72:73]
	v_add_f64 v[150:151], v[68:69], v[84:85]
	v_mul_f64 v[68:69], v[66:67], s[22:23]
	v_add_f64 v[80:81], v[72:73], v[80:81]
	v_fma_f64 v[72:73], s[18:19], v[142:143], v[70:71]
	v_fma_f64 v[70:71], v[140:141], s[0:1], -v[68:69]
	v_add_f64 v[108:109], v[108:109], v[114:115]
	v_add_f64 v[114:115], v[70:71], v[94:95]
	v_mul_f64 v[70:71], v[64:65], s[22:23]
	v_fmac_f64_e32 v[68:69], s[0:1], v[140:141]
	v_add_f64 v[134:135], v[104:105], v[134:135]
	v_add_f64 v[104:105], v[68:69], v[86:87]
	v_fma_f64 v[68:69], v[142:143], s[0:1], -v[70:71]
	v_add_f64 v[138:139], v[138:139], v[146:147]
	v_add_f64 v[122:123], v[110:111], v[122:123]
	v_fma_f64 v[110:111], s[28:29], v[90:91], v[106:107]
	v_add_f64 v[106:107], v[68:69], v[96:97]
	v_mul_f64 v[68:69], v[66:67], s[34:35]
	v_add_f64 v[130:131], v[130:131], v[138:139]
	v_add_f64 v[146:147], v[72:73], v[92:93]
	v_fma_f64 v[72:73], s[0:1], v[142:143], v[70:71]
	v_fma_f64 v[70:71], v[140:141], s[16:17], -v[68:69]
	v_add_f64 v[130:131], v[110:111], v[130:131]
	v_add_f64 v[110:111], v[70:71], v[102:103]
	v_mul_f64 v[70:71], v[64:65], s[34:35]
	v_fmac_f64_e32 v[68:69], s[16:17], v[140:141]
	v_add_f64 v[112:113], v[72:73], v[98:99]
	v_add_f64 v[98:99], v[68:69], v[100:101]
	v_fma_f64 v[68:69], v[142:143], s[16:17], -v[70:71]
	v_add_f64 v[96:97], v[68:69], v[136:137]
	v_mul_f64 v[68:69], v[66:67], s[38:39]
	v_fma_f64 v[72:73], s[16:17], v[142:143], v[70:71]
	v_fma_f64 v[70:71], v[140:141], s[28:29], -v[68:69]
	v_add_f64 v[94:95], v[70:71], v[118:119]
	v_mul_f64 v[70:71], v[64:65], s[38:39]
	v_fmac_f64_e32 v[68:69], s[28:29], v[140:141]
	v_add_f64 v[90:91], v[68:69], v[116:117]
	v_fma_f64 v[68:69], v[142:143], s[28:29], -v[70:71]
	v_fmac_f64_e32 v[74:75], s[16:17], v[88:89]
	v_add_f64 v[88:89], v[68:69], v[120:121]
	v_mul_f64 v[68:69], v[66:67], s[26:27]
	v_add_f64 v[108:109], v[72:73], v[108:109]
	v_fma_f64 v[72:73], s[28:29], v[142:143], v[70:71]
	v_fma_f64 v[70:71], v[140:141], s[20:21], -v[68:69]
	v_add_f64 v[138:139], v[74:75], v[82:83]
	v_add_f64 v[82:83], v[70:71], v[126:127]
	v_mul_f64 v[70:71], v[64:65], s[26:27]
	v_fmac_f64_e32 v[68:69], s[20:21], v[140:141]
	v_add_f64 v[92:93], v[72:73], v[122:123]
	v_fma_f64 v[72:73], s[20:21], v[142:143], v[70:71]
	v_add_f64 v[74:75], v[68:69], v[124:125]
	v_fma_f64 v[68:69], v[142:143], s[20:21], -v[70:71]
	v_mul_f64 v[66:67], v[66:67], s[14:15]
	v_add_f64 v[78:79], v[72:73], v[130:131]
	v_add_f64 v[72:73], v[68:69], v[128:129]
	v_fma_f64 v[68:69], v[140:141], s[12:13], -v[66:67]
	v_mul_f64 v[64:65], v[64:65], s[14:15]
	v_add_f64 v[70:71], v[68:69], v[132:133]
	v_fma_f64 v[68:69], s[12:13], v[142:143], v[64:65]
	v_fma_f64 v[64:65], v[142:143], s[12:13], -v[64:65]
	v_add_f64 v[86:87], v[58:59], -v[62:63]
	v_add_f64 v[64:65], v[64:65], v[80:81]
	v_add_f64 v[80:81], v[56:57], v[60:61]
	v_add_f64 v[84:85], v[56:57], -v[60:61]
	v_mul_f64 v[60:61], v[86:87], s[30:31]
	v_add_f64 v[76:77], v[58:59], v[62:63]
	v_fma_f64 v[56:57], v[80:81], s[28:29], -v[60:61]
	v_mul_f64 v[62:63], v[84:85], s[30:31]
	v_fmac_f64_e32 v[60:61], s[28:29], v[80:81]
	v_add_f64 v[100:101], v[60:61], v[148:149]
	v_fma_f64 v[60:61], v[76:77], s[28:29], -v[62:63]
	v_mul_f64 v[116:117], v[86:87], s[26:27]
	v_add_f64 v[102:103], v[60:61], v[150:151]
	v_fma_f64 v[60:61], v[80:81], s[20:21], -v[116:117]
	v_add_f64 v[60:61], v[60:61], v[114:115]
	v_mul_f64 v[114:115], v[84:85], s[26:27]
	v_fma_f64 v[58:59], s[28:29], v[76:77], v[62:63]
	v_fma_f64 v[62:63], s[20:21], v[76:77], v[114:115]
	v_fmac_f64_e32 v[116:117], s[20:21], v[80:81]
	v_add_f64 v[62:63], v[62:63], v[112:113]
	v_add_f64 v[104:105], v[116:117], v[104:105]
	v_fma_f64 v[112:113], v[76:77], s[20:21], -v[114:115]
	v_mul_f64 v[116:117], v[86:87], s[24:25]
	v_add_f64 v[106:107], v[112:113], v[106:107]
	v_fma_f64 v[112:113], v[80:81], s[18:19], -v[116:117]
	v_add_f64 v[112:113], v[112:113], v[110:111]
	v_mul_f64 v[110:111], v[84:85], s[24:25]
	v_fma_f64 v[114:115], s[18:19], v[76:77], v[110:111]
	v_fmac_f64_e32 v[116:117], s[18:19], v[80:81]
	v_add_f64 v[114:115], v[114:115], v[108:109]
	v_add_f64 v[108:109], v[116:117], v[98:99]
	v_fma_f64 v[98:99], v[76:77], s[18:19], -v[110:111]
	v_add_f64 v[110:111], v[98:99], v[96:97]
	v_mul_f64 v[98:99], v[86:87], s[36:37]
	v_fma_f64 v[96:97], v[80:81], s[16:17], -v[98:99]
	v_mul_f64 v[116:117], v[84:85], s[36:37]
	v_add_f64 v[94:95], v[96:97], v[94:95]
	v_fma_f64 v[96:97], s[16:17], v[76:77], v[116:117]
	v_add_f64 v[96:97], v[96:97], v[92:93]
	v_fma_f64 v[92:93], v[76:77], s[16:17], -v[116:117]
	v_fmac_f64_e32 v[98:99], s[16:17], v[80:81]
	v_add_f64 v[92:93], v[92:93], v[88:89]
	v_mul_f64 v[88:89], v[86:87], s[14:15]
	v_add_f64 v[90:91], v[98:99], v[90:91]
	v_fma_f64 v[98:99], v[80:81], s[12:13], -v[88:89]
	v_add_f64 v[116:117], v[98:99], v[82:83]
	v_mul_f64 v[82:83], v[84:85], s[14:15]
	v_fmac_f64_e32 v[88:89], s[12:13], v[80:81]
	v_add_f64 v[120:121], v[88:89], v[74:75]
	v_fma_f64 v[74:75], v[76:77], s[12:13], -v[82:83]
	v_fma_f64 v[98:99], s[12:13], v[76:77], v[82:83]
	v_add_f64 v[122:123], v[74:75], v[72:73]
	v_mul_f64 v[74:75], v[86:87], s[22:23]
	v_add_f64 v[118:119], v[98:99], v[78:79]
	v_fma_f64 v[72:73], v[80:81], s[0:1], -v[74:75]
	v_mul_f64 v[78:79], v[84:85], s[22:23]
	v_add_f64 v[68:69], v[68:69], v[134:135]
	v_fmac_f64_e32 v[66:67], s[12:13], v[140:141]
	v_add_f64 v[70:71], v[72:73], v[70:71]
	v_fma_f64 v[72:73], s[0:1], v[76:77], v[78:79]
	v_mul_lo_u16_e32 v0, 13, v208
	v_add_f64 v[66:67], v[66:67], v[138:139]
	v_add_f64 v[72:73], v[72:73], v[68:69]
	v_fmac_f64_e32 v[74:75], s[0:1], v[80:81]
	v_fma_f64 v[68:69], v[76:77], s[0:1], -v[78:79]
	v_lshl_add_u32 v192, v0, 4, v211
	v_add_f64 v[56:57], v[56:57], v[144:145]
	v_add_f64 v[58:59], v[58:59], v[146:147]
	;; [unrolled: 1-line block ×4, first 2 shown]
	s_barrier
	ds_write_b128 v192, v[52:55]
	ds_write_b128 v192, v[56:59] offset:16
	ds_write_b128 v192, v[60:63] offset:32
	;; [unrolled: 1-line block ×12, first 2 shown]
	s_waitcnt lgkmcnt(0)
	s_barrier
	ds_read_b128 v[116:119], v209
	ds_read_b128 v[112:115], v209 offset:1040
	ds_read_b128 v[136:139], v209 offset:2704
	;; [unrolled: 1-line block ×9, first 2 shown]
	v_accvgpr_write_b32 a0, v4
	v_accvgpr_write_b32 a8, v8
	;; [unrolled: 1-line block ×8, first 2 shown]
	v_cmp_gt_u16_e32 vcc, 39, v208
                                        ; implicit-def: $vgpr152_vgpr153
                                        ; implicit-def: $vgpr156_vgpr157
	s_and_saveexec_b64 s[0:1], vcc
	s_cbranch_execz .LBB0_3
; %bb.2:
	ds_read_b128 v[108:111], v209 offset:2080
	ds_read_b128 v[104:107], v209 offset:4784
	;; [unrolled: 1-line block ×5, first 2 shown]
.LBB0_3:
	s_or_b64 exec, exec, s[0:1]
	s_movk_i32 s0, 0x4f
	v_mul_lo_u16_sdwa v0, v208, s0 dst_sel:DWORD dst_unused:UNUSED_PAD src0_sel:BYTE_0 src1_sel:DWORD
	v_lshrrev_b16_e32 v174, 10, v0
	v_mul_lo_u16_e32 v0, 13, v174
	v_sub_u16_e32 v175, v208, v0
	v_mov_b32_e32 v0, 6
	v_lshlrev_b32_sdwa v1, v0, v175 dst_sel:DWORD dst_unused:UNUSED_PAD src0_sel:DWORD src1_sel:BYTE_0
	global_load_dwordx4 v[68:71], v1, s[10:11] offset:48
	global_load_dwordx4 v[72:75], v1, s[10:11] offset:32
	;; [unrolled: 1-line block ×3, first 2 shown]
	global_load_dwordx4 v[80:83], v1, s[10:11]
	v_add_u16_e32 v1, 0x41, v208
	v_mul_lo_u16_sdwa v2, v1, s0 dst_sel:DWORD dst_unused:UNUSED_PAD src0_sel:BYTE_0 src1_sel:DWORD
	v_lshrrev_b16_e32 v2, 10, v2
	v_mul_lo_u16_e32 v3, 13, v2
	v_sub_u16_e32 v1, v1, v3
	v_lshlrev_b32_sdwa v3, v0, v1 dst_sel:DWORD dst_unused:UNUSED_PAD src0_sel:DWORD src1_sel:BYTE_0
	global_load_dwordx4 v[88:91], v3, s[10:11] offset:16
	global_load_dwordx4 v[96:99], v3, s[10:11]
	global_load_dwordx4 v[84:87], v3, s[10:11] offset:48
	global_load_dwordx4 v[92:95], v3, s[10:11] offset:32
	v_add_u16_e32 v3, 0x82, v208
	v_mul_lo_u16_sdwa v4, v3, s0 dst_sel:DWORD dst_unused:UNUSED_PAD src0_sel:BYTE_0 src1_sel:DWORD
	v_lshrrev_b16_e32 v4, 10, v4
	v_accvgpr_write_b32 a12, v4
	v_mul_lo_u16_e32 v4, 13, v4
	v_sub_u16_e32 v3, v3, v4
	v_lshlrev_b32_sdwa v0, v0, v3 dst_sel:DWORD dst_unused:UNUSED_PAD src0_sel:DWORD src1_sel:BYTE_0
	global_load_dwordx4 v[56:59], v0, s[10:11]
	global_load_dwordx4 v[64:67], v0, s[10:11] offset:16
	global_load_dwordx4 v[60:63], v0, s[10:11] offset:32
	;; [unrolled: 1-line block ×3, first 2 shown]
	s_mov_b32 s0, 0x134454ff
	s_mov_b32 s1, 0x3fee6f0e
	;; [unrolled: 1-line block ×10, first 2 shown]
	v_mul_u32_u24_e32 v0, 0x41, v174
	v_add_u32_sdwa v0, v0, v175 dst_sel:DWORD dst_unused:UNUSED_PAD src0_sel:DWORD src1_sel:BYTE_0
	v_accvgpr_write_b32 a13, v3
	v_mov_b32_e32 v161, 0
	s_waitcnt lgkmcnt(0)
	s_barrier
	s_waitcnt vmcnt(11)
	v_mul_f64 v[186:187], v[148:149], v[70:71]
	s_waitcnt vmcnt(10)
	v_mul_f64 v[178:179], v[146:147], v[74:75]
	;; [unrolled: 2-line block ×4, first 2 shown]
	v_mul_f64 v[180:181], v[140:141], v[78:79]
	v_fma_f64 v[170:171], v[136:137], v[80:81], -v[170:171]
	v_mul_f64 v[172:173], v[136:137], v[82:83]
	v_fma_f64 v[140:141], v[140:141], v[76:77], -v[176:177]
	v_fmac_f64_e32 v[180:181], v[142:143], v[76:77]
	s_waitcnt vmcnt(5)
	v_mul_f64 v[204:205], v[132:133], v[86:87]
	v_mul_f64 v[196:197], v[134:135], v[86:87]
	v_fma_f64 v[142:143], v[144:145], v[72:73], -v[178:179]
	v_fmac_f64_e32 v[204:205], v[134:135], v[84:85]
	v_mul_f64 v[182:183], v[144:145], v[74:75]
	v_mul_f64 v[184:185], v[150:151], v[70:71]
	;; [unrolled: 1-line block ×3, first 2 shown]
	s_waitcnt vmcnt(2)
	v_mul_f64 v[214:215], v[102:103], v[66:67]
	v_mul_f64 v[164:165], v[100:101], v[66:67]
	v_fma_f64 v[134:135], v[100:101], v[64:65], -v[214:215]
	v_add_f64 v[100:101], v[116:117], v[170:171]
	v_mul_f64 v[190:191], v[126:127], v[90:91]
	v_mul_f64 v[206:207], v[106:107], v[58:59]
	v_fmac_f64_e32 v[172:173], v[138:139], v[80:81]
	v_fmac_f64_e32 v[186:187], v[150:151], v[68:69]
	;; [unrolled: 1-line block ×3, first 2 shown]
	v_add_f64 v[102:103], v[140:141], v[142:143]
	v_add_f64 v[100:101], v[100:101], v[140:141]
	v_mul_f64 v[198:199], v[120:121], v[98:99]
	v_mul_f64 v[194:195], v[130:131], v[94:95]
	;; [unrolled: 1-line block ×3, first 2 shown]
	v_fmac_f64_e32 v[182:183], v[146:147], v[72:73]
	v_fma_f64 v[144:145], v[148:149], v[68:69], -v[184:185]
	v_fma_f64 v[146:147], v[120:121], v[96:97], -v[188:189]
	;; [unrolled: 1-line block ×5, first 2 shown]
	v_add_f64 v[104:105], v[172:173], -v[186:187]
	v_fma_f64 v[120:121], -0.5, v[102:103], v[116:117]
	v_add_f64 v[100:101], v[100:101], v[142:143]
	v_mul_f64 v[200:201], v[124:125], v[90:91]
	v_mul_f64 v[202:203], v[128:129], v[94:95]
	v_fma_f64 v[150:151], v[128:129], v[92:93], -v[194:195]
	v_fmac_f64_e32 v[162:163], v[106:107], v[56:57]
	v_add_f64 v[106:107], v[180:181], -v[182:183]
	v_fma_f64 v[124:125], s[0:1], v[104:105], v[120:121]
	v_add_f64 v[128:129], v[100:101], v[144:145]
	v_add_f64 v[100:101], v[170:171], -v[140:141]
	v_add_f64 v[102:103], v[144:145], -v[142:143]
	v_fmac_f64_e32 v[120:121], s[16:17], v[104:105]
	v_fmac_f64_e32 v[124:125], s[12:13], v[106:107]
	v_add_f64 v[100:101], v[100:101], v[102:103]
	v_fmac_f64_e32 v[120:121], s[18:19], v[106:107]
	v_fmac_f64_e32 v[124:125], s[14:15], v[100:101]
	;; [unrolled: 1-line block ×3, first 2 shown]
	v_add_f64 v[100:101], v[170:171], v[144:145]
	v_fmac_f64_e32 v[116:117], -0.5, v[100:101]
	v_fma_f64 v[176:177], s[16:17], v[106:107], v[116:117]
	v_add_f64 v[100:101], v[140:141], -v[170:171]
	v_add_f64 v[102:103], v[142:143], -v[144:145]
	v_fmac_f64_e32 v[116:117], s[0:1], v[106:107]
	v_fmac_f64_e32 v[176:177], s[12:13], v[104:105]
	v_add_f64 v[100:101], v[100:101], v[102:103]
	v_fmac_f64_e32 v[116:117], s[18:19], v[104:105]
	v_fmac_f64_e32 v[176:177], s[14:15], v[100:101]
	v_fmac_f64_e32 v[116:117], s[14:15], v[100:101]
	v_add_f64 v[100:101], v[118:119], v[172:173]
	v_add_f64 v[100:101], v[100:101], v[180:181]
	;; [unrolled: 1-line block ×3, first 2 shown]
	v_fmac_f64_e32 v[202:203], v[130:131], v[92:93]
	v_add_f64 v[130:131], v[100:101], v[186:187]
	v_add_f64 v[100:101], v[180:181], v[182:183]
	v_fmac_f64_e32 v[198:199], v[122:123], v[96:97]
	v_fma_f64 v[122:123], -0.5, v[100:101], v[118:119]
	v_add_f64 v[100:101], v[170:171], -v[144:145]
	v_fmac_f64_e32 v[200:201], v[126:127], v[88:89]
	v_fma_f64 v[126:127], s[16:17], v[100:101], v[122:123]
	v_add_f64 v[102:103], v[140:141], -v[142:143]
	v_add_f64 v[104:105], v[172:173], -v[180:181]
	;; [unrolled: 1-line block ×3, first 2 shown]
	v_fmac_f64_e32 v[122:123], s[0:1], v[100:101]
	v_fmac_f64_e32 v[126:127], s[18:19], v[102:103]
	v_add_f64 v[104:105], v[104:105], v[106:107]
	v_fmac_f64_e32 v[122:123], s[12:13], v[102:103]
	v_fmac_f64_e32 v[126:127], s[14:15], v[104:105]
	;; [unrolled: 1-line block ×3, first 2 shown]
	v_add_f64 v[104:105], v[172:173], v[186:187]
	v_fmac_f64_e32 v[118:119], -0.5, v[104:105]
	v_fma_f64 v[178:179], s[0:1], v[102:103], v[118:119]
	v_fmac_f64_e32 v[118:119], s[16:17], v[102:103]
	v_fmac_f64_e32 v[178:179], s[18:19], v[100:101]
	;; [unrolled: 1-line block ×3, first 2 shown]
	v_add_f64 v[100:101], v[112:113], v[146:147]
	v_add_f64 v[100:101], v[100:101], v[148:149]
	v_add_f64 v[100:101], v[100:101], v[150:151]
	v_add_f64 v[104:105], v[180:181], -v[172:173]
	v_add_f64 v[106:107], v[182:183], -v[186:187]
	v_add_f64 v[180:181], v[100:101], v[190:191]
	v_add_f64 v[100:101], v[148:149], v[150:151]
	;; [unrolled: 1-line block ×3, first 2 shown]
	v_fma_f64 v[184:185], -0.5, v[100:101], v[112:113]
	v_add_f64 v[100:101], v[198:199], -v[204:205]
	v_fmac_f64_e32 v[178:179], s[14:15], v[104:105]
	v_fmac_f64_e32 v[118:119], s[14:15], v[104:105]
	v_fma_f64 v[188:189], s[0:1], v[100:101], v[184:185]
	v_add_f64 v[102:103], v[200:201], -v[202:203]
	v_add_f64 v[104:105], v[146:147], -v[148:149]
	v_add_f64 v[106:107], v[190:191], -v[150:151]
	v_fmac_f64_e32 v[184:185], s[16:17], v[100:101]
	v_fmac_f64_e32 v[188:189], s[12:13], v[102:103]
	v_add_f64 v[104:105], v[104:105], v[106:107]
	v_fmac_f64_e32 v[184:185], s[18:19], v[102:103]
	v_fmac_f64_e32 v[188:189], s[14:15], v[104:105]
	;; [unrolled: 1-line block ×3, first 2 shown]
	v_add_f64 v[104:105], v[146:147], v[190:191]
	v_fmac_f64_e32 v[112:113], -0.5, v[104:105]
	v_fma_f64 v[194:195], s[16:17], v[102:103], v[112:113]
	v_fmac_f64_e32 v[112:113], s[0:1], v[102:103]
	v_fmac_f64_e32 v[194:195], s[12:13], v[100:101]
	;; [unrolled: 1-line block ×3, first 2 shown]
	v_add_f64 v[100:101], v[114:115], v[198:199]
	v_add_f64 v[100:101], v[100:101], v[200:201]
	;; [unrolled: 1-line block ×3, first 2 shown]
	v_add_f64 v[104:105], v[148:149], -v[146:147]
	v_add_f64 v[106:107], v[150:151], -v[190:191]
	v_add_f64 v[182:183], v[100:101], v[204:205]
	v_add_f64 v[100:101], v[200:201], v[202:203]
	v_add_f64 v[104:105], v[104:105], v[106:107]
	v_fma_f64 v[186:187], -0.5, v[100:101], v[114:115]
	v_add_f64 v[100:101], v[146:147], -v[190:191]
	v_fmac_f64_e32 v[194:195], s[14:15], v[104:105]
	v_fmac_f64_e32 v[112:113], s[14:15], v[104:105]
	v_fma_f64 v[190:191], s[16:17], v[100:101], v[186:187]
	v_add_f64 v[102:103], v[148:149], -v[150:151]
	v_add_f64 v[104:105], v[198:199], -v[200:201]
	;; [unrolled: 1-line block ×3, first 2 shown]
	v_fmac_f64_e32 v[186:187], s[0:1], v[100:101]
	v_fmac_f64_e32 v[190:191], s[18:19], v[102:103]
	v_add_f64 v[104:105], v[104:105], v[106:107]
	v_fmac_f64_e32 v[186:187], s[12:13], v[102:103]
	v_fmac_f64_e32 v[190:191], s[14:15], v[104:105]
	;; [unrolled: 1-line block ×3, first 2 shown]
	v_add_f64 v[104:105], v[198:199], v[204:205]
	s_waitcnt vmcnt(1)
	v_mul_f64 v[216:217], v[154:155], v[62:63]
	v_fmac_f64_e32 v[114:115], -0.5, v[104:105]
	s_waitcnt vmcnt(0)
	v_mul_f64 v[218:219], v[158:159], v[54:55]
	v_fma_f64 v[136:137], v[152:153], v[60:61], -v[216:217]
	v_fma_f64 v[196:197], s[0:1], v[102:103], v[114:115]
	v_fmac_f64_e32 v[114:115], s[16:17], v[102:103]
	v_fma_f64 v[138:139], v[156:157], v[52:53], -v[218:219]
	v_fmac_f64_e32 v[196:197], s[18:19], v[100:101]
	v_fmac_f64_e32 v[114:115], s[12:13], v[100:101]
	v_add_f64 v[100:101], v[134:135], v[136:137]
	v_add_f64 v[104:105], v[200:201], -v[198:199]
	v_add_f64 v[106:107], v[202:203], -v[204:205]
	v_fma_f64 v[140:141], -0.5, v[100:101], v[108:109]
	v_add_f64 v[100:101], v[132:133], -v[134:135]
	v_add_f64 v[102:103], v[138:139], -v[136:137]
	v_mul_f64 v[166:167], v[152:153], v[62:63]
	v_add_f64 v[104:105], v[104:105], v[106:107]
	v_add_f64 v[148:149], v[100:101], v[102:103]
	;; [unrolled: 1-line block ×3, first 2 shown]
	v_mul_f64 v[168:169], v[156:157], v[54:55]
	v_fmac_f64_e32 v[166:167], v[154:155], v[60:61]
	v_fmac_f64_e32 v[196:197], s[14:15], v[104:105]
	;; [unrolled: 1-line block ×3, first 2 shown]
	v_fma_f64 v[142:143], -0.5, v[102:103], v[108:109]
	v_add_f64 v[102:103], v[134:135], -v[132:133]
	v_add_f64 v[104:105], v[136:137], -v[138:139]
	v_fmac_f64_e32 v[168:169], v[158:159], v[52:53]
	v_add_f64 v[152:153], v[102:103], v[104:105]
	v_add_f64 v[102:103], v[164:165], v[166:167]
	v_fma_f64 v[150:151], -0.5, v[102:103], v[110:111]
	v_add_f64 v[102:103], v[162:163], -v[164:165]
	v_add_f64 v[106:107], v[168:169], -v[166:167]
	v_add_f64 v[158:159], v[102:103], v[106:107]
	v_add_f64 v[106:107], v[162:163], v[168:169]
	v_add_f64 v[144:145], v[162:163], -v[168:169]
	v_add_f64 v[146:147], v[164:165], -v[166:167]
	;; [unrolled: 1-line block ×4, first 2 shown]
	v_fma_f64 v[170:171], -0.5, v[106:107], v[110:111]
	v_add_f64 v[106:107], v[164:165], -v[162:163]
	v_add_f64 v[172:173], v[166:167], -v[168:169]
	v_fma_f64 v[100:101], s[16:17], v[144:145], v[140:141]
	v_fma_f64 v[104:105], s[0:1], v[146:147], v[142:143]
	;; [unrolled: 1-line block ×3, first 2 shown]
	v_add_f64 v[172:173], v[106:107], v[172:173]
	v_fma_f64 v[106:107], s[16:17], v[156:157], v[170:171]
	v_lshl_add_u32 v214, v0, 4, v211
	v_mul_u32_u24_e32 v0, 0x41, v2
	v_fmac_f64_e32 v[100:101], s[18:19], v[146:147]
	v_fmac_f64_e32 v[104:105], s[18:19], v[144:145]
	;; [unrolled: 1-line block ×4, first 2 shown]
	v_add_u32_sdwa v0, v0, v1 dst_sel:DWORD dst_unused:UNUSED_PAD src0_sel:DWORD src1_sel:BYTE_0
	v_fmac_f64_e32 v[100:101], s[14:15], v[148:149]
	v_fmac_f64_e32 v[104:105], s[14:15], v[152:153]
	;; [unrolled: 1-line block ×4, first 2 shown]
	v_lshl_add_u32 v215, v0, 4, v211
	ds_write_b128 v214, v[128:131]
	ds_write_b128 v214, v[124:127] offset:208
	ds_write_b128 v214, v[176:179] offset:416
	;; [unrolled: 1-line block ×4, first 2 shown]
	ds_write_b128 v215, v[180:183]
	ds_write_b128 v215, v[188:191] offset:208
	ds_write_b128 v215, v[194:197] offset:416
	;; [unrolled: 1-line block ×4, first 2 shown]
	s_and_saveexec_b64 s[16:17], vcc
	s_cbranch_execz .LBB0_5
; %bb.4:
	v_add_f64 v[110:111], v[110:111], v[162:163]
	v_mul_f64 v[116:117], v[154:155], s[0:1]
	v_add_f64 v[110:111], v[110:111], v[164:165]
	v_add_f64 v[108:109], v[108:109], v[132:133]
	v_accvgpr_read_b32 v0, a12
	v_mul_f64 v[114:115], v[144:145], s[0:1]
	v_mul_f64 v[124:125], v[146:147], s[0:1]
	;; [unrolled: 1-line block ×4, first 2 shown]
	v_add_f64 v[116:117], v[150:151], -v[116:117]
	v_add_f64 v[110:111], v[110:111], v[166:167]
	v_add_f64 v[108:109], v[108:109], v[134:135]
	v_mul_u32_u24_e32 v0, 0x41, v0
	v_accvgpr_read_b32 v1, a13
	v_mul_f64 v[118:119], v[146:147], s[12:13]
	v_mul_f64 v[126:127], v[144:145], s[12:13]
	;; [unrolled: 1-line block ×3, first 2 shown]
	v_add_f64 v[112:113], v[112:113], v[170:171]
	v_add_f64 v[116:117], v[116:117], -v[120:121]
	v_add_f64 v[120:121], v[110:111], v[168:169]
	v_add_f64 v[110:111], v[142:143], -v[124:125]
	v_add_f64 v[114:115], v[140:141], v[114:115]
	v_add_f64 v[108:109], v[108:109], v[136:137]
	v_add_u32_sdwa v0, v0, v1 dst_sel:DWORD dst_unused:UNUSED_PAD src0_sel:DWORD src1_sel:BYTE_0
	v_mul_f64 v[122:123], v[148:149], s[14:15]
	v_mul_f64 v[128:129], v[152:153], s[14:15]
	;; [unrolled: 1-line block ×4, first 2 shown]
	v_add_f64 v[112:113], v[112:113], -v[144:145]
	v_add_f64 v[110:111], v[126:127], v[110:111]
	v_add_f64 v[114:115], v[118:119], v[114:115]
	;; [unrolled: 1-line block ×3, first 2 shown]
	v_lshl_add_u32 v0, v0, 4, v211
	v_add_f64 v[112:113], v[146:147], v[112:113]
	v_add_f64 v[116:117], v[130:131], v[116:117]
	;; [unrolled: 1-line block ×4, first 2 shown]
	ds_write_b128 v0, v[118:121]
	ds_write_b128 v0, v[114:117] offset:208
	ds_write_b128 v0, v[110:113] offset:416
	;; [unrolled: 1-line block ×4, first 2 shown]
.LBB0_5:
	s_or_b64 exec, exec, s[16:17]
	s_movk_i32 s0, 0xc0
	v_mov_b64_e32 v[108:109], s[10:11]
	v_mad_u64_u32 v[140:141], s[0:1], v208, s0, v[108:109]
	s_waitcnt lgkmcnt(0)
	s_barrier
	global_load_dwordx4 v[120:123], v[140:141], off offset:832
	global_load_dwordx4 v[116:119], v[140:141], off offset:848
	;; [unrolled: 1-line block ×11, first 2 shown]
	s_nop 0
	global_load_dwordx4 v[140:143], v[140:141], off offset:1008
	ds_read_b128 v[194:197], v209
	ds_read_b128 v[156:159], v209 offset:1040
	ds_read_b128 v[164:167], v209 offset:2080
	ds_read_b128 v[172:175], v209 offset:3120
	ds_read_b128 v[182:185], v209 offset:4160
	ds_read_b128 v[198:201], v209 offset:5200
	ds_read_b128 v[202:205], v209 offset:6240
	ds_read_b128 v[216:219], v209 offset:7280
	ds_read_b128 v[220:223], v209 offset:8320
	ds_read_b128 v[224:227], v209 offset:9360
	ds_read_b128 v[228:231], v209 offset:10400
	ds_read_b128 v[232:235], v209 offset:11440
	ds_read_b128 v[236:239], v209 offset:12480
	v_lshl_add_u64 v[180:181], s[8:9], 0, v[160:161]
	s_mov_b32 s18, 0x4267c47c
	s_mov_b32 s12, 0x42a4c3d2
	;; [unrolled: 1-line block ×30, first 2 shown]
	s_movk_i32 s0, 0x3000
	s_waitcnt vmcnt(11) lgkmcnt(11)
	v_mul_f64 v[190:191], v[158:159], v[122:123]
	v_mul_f64 v[206:207], v[156:157], v[122:123]
	s_waitcnt vmcnt(10) lgkmcnt(10)
	v_mul_f64 v[240:241], v[166:167], v[118:119]
	v_fma_f64 v[10:11], v[156:157], v[120:121], -v[190:191]
	v_mul_f64 v[242:243], v[164:165], v[118:119]
	s_waitcnt vmcnt(9) lgkmcnt(9)
	v_mul_f64 v[244:245], v[174:175], v[114:115]
	v_fmac_f64_e32 v[206:207], v[158:159], v[120:121]
	v_fma_f64 v[240:241], v[164:165], v[116:117], -v[240:241]
	v_add_f64 v[156:157], v[194:195], v[10:11]
	v_mul_f64 v[186:187], v[172:173], v[114:115]
	s_waitcnt vmcnt(8) lgkmcnt(8)
	v_mul_f64 v[246:247], v[184:185], v[110:111]
	v_fmac_f64_e32 v[242:243], v[166:167], v[116:117]
	v_fma_f64 v[190:191], v[172:173], v[112:113], -v[244:245]
	v_add_f64 v[158:159], v[196:197], v[206:207]
	v_add_f64 v[156:157], v[156:157], v[240:241]
	v_mul_f64 v[176:177], v[182:183], v[110:111]
	s_waitcnt vmcnt(7) lgkmcnt(7)
	v_mul_f64 v[248:249], v[200:201], v[138:139]
	v_fmac_f64_e32 v[186:187], v[174:175], v[112:113]
	v_fma_f64 v[182:183], v[182:183], v[108:109], -v[246:247]
	v_add_f64 v[158:159], v[158:159], v[242:243]
	v_add_f64 v[156:157], v[156:157], v[190:191]
	v_mul_f64 v[168:169], v[198:199], v[138:139]
	s_waitcnt vmcnt(6) lgkmcnt(6)
	v_mul_f64 v[250:251], v[204:205], v[134:135]
	v_fmac_f64_e32 v[176:177], v[184:185], v[108:109]
	v_fma_f64 v[172:173], v[198:199], v[136:137], -v[248:249]
	v_add_f64 v[158:159], v[158:159], v[186:187]
	v_add_f64 v[156:157], v[156:157], v[182:183]
	v_mul_f64 v[160:161], v[202:203], v[134:135]
	s_waitcnt vmcnt(5) lgkmcnt(5)
	v_mul_f64 v[252:253], v[218:219], v[130:131]
	v_fmac_f64_e32 v[168:169], v[200:201], v[136:137]
	v_fma_f64 v[164:165], v[202:203], v[132:133], -v[250:251]
	v_add_f64 v[158:159], v[158:159], v[176:177]
	v_add_f64 v[156:157], v[156:157], v[172:173]
	v_mul_f64 v[162:163], v[216:217], v[130:131]
	s_waitcnt vmcnt(4) lgkmcnt(4)
	v_mul_f64 v[254:255], v[222:223], v[126:127]
	v_fmac_f64_e32 v[160:161], v[204:205], v[132:133]
	v_fma_f64 v[166:167], v[216:217], v[128:129], -v[252:253]
	v_add_f64 v[158:159], v[158:159], v[168:169]
	v_add_f64 v[156:157], v[156:157], v[164:165]
	v_mul_f64 v[170:171], v[220:221], v[126:127]
	s_waitcnt vmcnt(3) lgkmcnt(3)
	v_mul_f64 v[212:213], v[226:227], v[154:155]
	v_fmac_f64_e32 v[162:163], v[218:219], v[128:129]
	v_fma_f64 v[174:175], v[220:221], v[124:125], -v[254:255]
	v_add_f64 v[158:159], v[158:159], v[160:161]
	v_add_f64 v[156:157], v[156:157], v[166:167]
	v_mul_f64 v[178:179], v[224:225], v[154:155]
	s_waitcnt vmcnt(2) lgkmcnt(2)
	v_mul_f64 v[0:1], v[230:231], v[150:151]
	v_fmac_f64_e32 v[170:171], v[222:223], v[124:125]
	v_fma_f64 v[184:185], v[224:225], v[152:153], -v[212:213]
	v_add_f64 v[158:159], v[158:159], v[162:163]
	v_add_f64 v[156:157], v[156:157], v[174:175]
	v_mul_f64 v[188:189], v[228:229], v[150:151]
	s_waitcnt vmcnt(1) lgkmcnt(1)
	v_mul_f64 v[2:3], v[234:235], v[146:147]
	v_fmac_f64_e32 v[178:179], v[226:227], v[152:153]
	v_fma_f64 v[0:1], v[228:229], v[148:149], -v[0:1]
	v_add_f64 v[158:159], v[158:159], v[170:171]
	v_add_f64 v[156:157], v[156:157], v[184:185]
	v_mul_f64 v[4:5], v[232:233], v[146:147]
	s_waitcnt vmcnt(0) lgkmcnt(0)
	v_mul_f64 v[6:7], v[238:239], v[142:143]
	v_fmac_f64_e32 v[188:189], v[230:231], v[148:149]
	v_fma_f64 v[2:3], v[232:233], v[144:145], -v[2:3]
	v_add_f64 v[158:159], v[158:159], v[178:179]
	v_add_f64 v[156:157], v[156:157], v[0:1]
	v_mul_f64 v[8:9], v[236:237], v[142:143]
	v_fmac_f64_e32 v[4:5], v[234:235], v[144:145]
	v_fma_f64 v[6:7], v[236:237], v[140:141], -v[6:7]
	v_add_f64 v[158:159], v[158:159], v[188:189]
	v_add_f64 v[156:157], v[156:157], v[2:3]
	v_fmac_f64_e32 v[8:9], v[238:239], v[140:141]
	v_add_f64 v[158:159], v[158:159], v[4:5]
	v_add_f64 v[156:157], v[156:157], v[6:7]
	;; [unrolled: 1-line block ×3, first 2 shown]
	v_add_f64 v[6:7], v[10:11], -v[6:7]
	v_add_f64 v[158:159], v[158:159], v[8:9]
	v_add_f64 v[200:201], v[206:207], v[8:9]
	v_add_f64 v[8:9], v[206:207], -v[8:9]
	v_mul_f64 v[204:205], v[6:7], s[18:19]
	v_mul_f64 v[218:219], v[6:7], s[12:13]
	;; [unrolled: 1-line block ×7, first 2 shown]
	v_fma_f64 v[206:207], s[20:21], v[200:201], v[204:205]
	v_fma_f64 v[204:205], v[200:201], s[20:21], -v[204:205]
	v_mul_f64 v[212:213], v[8:9], s[12:13]
	v_fma_f64 v[220:221], s[14:15], v[200:201], v[218:219]
	v_fma_f64 v[218:219], v[200:201], s[14:15], -v[218:219]
	v_mul_f64 v[222:223], v[8:9], s[8:9]
	;; [unrolled: 3-line block ×5, first 2 shown]
	v_fma_f64 v[252:253], s[34:35], v[200:201], v[6:7]
	v_fma_f64 v[6:7], v[200:201], s[34:35], -v[6:7]
	v_fma_f64 v[202:203], v[198:199], s[20:21], -v[10:11]
	v_add_f64 v[206:207], v[196:197], v[206:207]
	v_fmac_f64_e32 v[10:11], s[20:21], v[198:199]
	v_add_f64 v[204:205], v[196:197], v[204:205]
	v_fma_f64 v[216:217], v[198:199], s[14:15], -v[212:213]
	v_add_f64 v[220:221], v[196:197], v[220:221]
	v_fmac_f64_e32 v[212:213], s[14:15], v[198:199]
	v_add_f64 v[218:219], v[196:197], v[218:219]
	;; [unrolled: 4-line block ×6, first 2 shown]
	v_add_f64 v[196:197], v[242:243], v[4:5]
	v_add_f64 v[4:5], v[242:243], -v[4:5]
	v_add_f64 v[202:203], v[194:195], v[202:203]
	v_add_f64 v[10:11], v[194:195], v[10:11]
	;; [unrolled: 1-line block ×13, first 2 shown]
	v_mul_f64 v[198:199], v[4:5], s[12:13]
	v_add_f64 v[2:3], v[240:241], -v[2:3]
	v_fma_f64 v[200:201], v[194:195], s[14:15], -v[198:199]
	v_add_f64 v[200:201], v[200:201], v[202:203]
	v_mul_f64 v[202:203], v[2:3], s[12:13]
	v_fmac_f64_e32 v[198:199], s[14:15], v[194:195]
	v_fma_f64 v[240:241], s[14:15], v[196:197], v[202:203]
	v_add_f64 v[10:11], v[198:199], v[10:11]
	v_fma_f64 v[198:199], v[196:197], s[14:15], -v[202:203]
	v_mul_f64 v[202:203], v[4:5], s[16:17]
	v_add_f64 v[198:199], v[198:199], v[204:205]
	v_fma_f64 v[204:205], v[194:195], s[22:23], -v[202:203]
	v_add_f64 v[204:205], v[204:205], v[216:217]
	v_mul_f64 v[216:217], v[2:3], s[16:17]
	v_fmac_f64_e32 v[202:203], s[22:23], v[194:195]
	v_add_f64 v[206:207], v[240:241], v[206:207]
	v_fma_f64 v[240:241], s[22:23], v[196:197], v[216:217]
	v_add_f64 v[202:203], v[202:203], v[212:213]
	v_fma_f64 v[212:213], v[196:197], s[22:23], -v[216:217]
	v_mul_f64 v[216:217], v[4:5], s[30:31]
	v_add_f64 v[212:213], v[212:213], v[218:219]
	v_fma_f64 v[218:219], v[194:195], s[34:35], -v[216:217]
	v_add_f64 v[218:219], v[218:219], v[224:225]
	v_mul_f64 v[224:225], v[2:3], s[30:31]
	v_fmac_f64_e32 v[216:217], s[34:35], v[194:195]
	v_add_f64 v[220:221], v[240:241], v[220:221]
	;; [unrolled: 10-line block ×3, first 2 shown]
	v_fma_f64 v[240:241], s[26:27], v[196:197], v[232:233]
	v_add_f64 v[224:225], v[224:225], v[230:231]
	v_fma_f64 v[230:231], v[196:197], s[26:27], -v[232:233]
	v_mul_f64 v[232:233], v[4:5], s[28:29]
	v_add_f64 v[236:237], v[240:241], v[236:237]
	v_add_f64 v[230:231], v[230:231], v[234:235]
	v_fma_f64 v[234:235], v[194:195], s[10:11], -v[232:233]
	v_mul_f64 v[240:241], v[2:3], s[28:29]
	v_fmac_f64_e32 v[232:233], s[10:11], v[194:195]
	v_mul_f64 v[4:5], v[4:5], s[40:41]
	v_fma_f64 v[242:243], s[10:11], v[196:197], v[240:241]
	v_add_f64 v[232:233], v[232:233], v[238:239]
	v_fma_f64 v[238:239], v[196:197], s[10:11], -v[240:241]
	v_fma_f64 v[240:241], v[194:195], s[20:21], -v[4:5]
	v_mul_f64 v[2:3], v[2:3], s[40:41]
	v_fmac_f64_e32 v[4:5], s[20:21], v[194:195]
	v_add_f64 v[234:235], v[234:235], v[244:245]
	v_fma_f64 v[244:245], s[20:21], v[196:197], v[2:3]
	v_add_f64 v[4:5], v[4:5], v[8:9]
	v_fma_f64 v[2:3], v[196:197], s[20:21], -v[2:3]
	v_add_f64 v[8:9], v[186:187], v[188:189]
	v_add_f64 v[186:187], v[186:187], -v[188:189]
	v_add_f64 v[2:3], v[2:3], v[6:7]
	v_add_f64 v[6:7], v[190:191], v[0:1]
	v_add_f64 v[0:1], v[190:191], -v[0:1]
	v_mul_f64 v[188:189], v[186:187], s[8:9]
	v_fma_f64 v[190:191], v[6:7], s[10:11], -v[188:189]
	v_mul_f64 v[194:195], v[0:1], s[8:9]
	v_fmac_f64_e32 v[188:189], s[10:11], v[6:7]
	v_fma_f64 v[196:197], s[10:11], v[8:9], v[194:195]
	v_add_f64 v[10:11], v[188:189], v[10:11]
	v_fma_f64 v[188:189], v[8:9], s[10:11], -v[194:195]
	v_mul_f64 v[194:195], v[186:187], s[30:31]
	v_add_f64 v[190:191], v[190:191], v[200:201]
	v_add_f64 v[188:189], v[188:189], v[198:199]
	v_fma_f64 v[198:199], v[6:7], s[34:35], -v[194:195]
	v_mul_f64 v[200:201], v[0:1], s[30:31]
	v_fmac_f64_e32 v[194:195], s[34:35], v[6:7]
	v_add_f64 v[198:199], v[198:199], v[204:205]
	v_fma_f64 v[204:205], s[34:35], v[8:9], v[200:201]
	v_add_f64 v[194:195], v[194:195], v[202:203]
	v_fma_f64 v[200:201], v[8:9], s[34:35], -v[200:201]
	v_mul_f64 v[202:203], v[186:187], s[38:39]
	v_add_f64 v[196:197], v[196:197], v[206:207]
	v_add_f64 v[200:201], v[200:201], v[212:213]
	v_fma_f64 v[206:207], v[6:7], s[22:23], -v[202:203]
	v_mul_f64 v[212:213], v[0:1], s[38:39]
	v_fmac_f64_e32 v[202:203], s[22:23], v[6:7]
	v_add_f64 v[206:207], v[206:207], v[218:219]
	;; [unrolled: 10-line block ×3, first 2 shown]
	v_fma_f64 v[226:227], s[20:21], v[8:9], v[222:223]
	v_add_f64 v[216:217], v[216:217], v[224:225]
	v_fma_f64 v[222:223], v[8:9], s[20:21], -v[222:223]
	v_mul_f64 v[224:225], v[186:187], s[12:13]
	v_add_f64 v[218:219], v[218:219], v[228:229]
	v_add_f64 v[222:223], v[222:223], v[230:231]
	v_fma_f64 v[228:229], v[6:7], s[14:15], -v[224:225]
	v_mul_f64 v[230:231], v[0:1], s[12:13]
	v_fmac_f64_e32 v[224:225], s[14:15], v[6:7]
	v_mul_f64 v[186:187], v[186:187], s[24:25]
	v_mul_f64 v[0:1], v[0:1], s[24:25]
	v_add_f64 v[226:227], v[226:227], v[236:237]
	v_add_f64 v[224:225], v[224:225], v[232:233]
	v_fma_f64 v[232:233], v[6:7], s[26:27], -v[186:187]
	v_fma_f64 v[236:237], s[26:27], v[8:9], v[0:1]
	v_fmac_f64_e32 v[186:187], s[26:27], v[6:7]
	v_fma_f64 v[0:1], v[8:9], s[26:27], -v[0:1]
	v_add_f64 v[6:7], v[176:177], v[178:179]
	v_add_f64 v[176:177], v[176:177], -v[178:179]
	v_add_f64 v[228:229], v[228:229], v[234:235]
	v_fma_f64 v[234:235], s[14:15], v[8:9], v[230:231]
	v_fma_f64 v[230:231], v[8:9], s[14:15], -v[230:231]
	v_add_f64 v[0:1], v[0:1], v[2:3]
	v_add_f64 v[2:3], v[182:183], v[184:185]
	v_add_f64 v[8:9], v[182:183], -v[184:185]
	v_mul_f64 v[178:179], v[176:177], s[16:17]
	v_fma_f64 v[182:183], v[2:3], s[22:23], -v[178:179]
	v_mul_f64 v[184:185], v[8:9], s[16:17]
	v_fmac_f64_e32 v[178:179], s[22:23], v[2:3]
	v_add_f64 v[4:5], v[186:187], v[4:5]
	v_fma_f64 v[186:187], s[22:23], v[6:7], v[184:185]
	v_add_f64 v[10:11], v[178:179], v[10:11]
	v_fma_f64 v[178:179], v[6:7], s[22:23], -v[184:185]
	v_mul_f64 v[184:185], v[176:177], s[36:37]
	v_add_f64 v[178:179], v[178:179], v[188:189]
	v_fma_f64 v[188:189], v[2:3], s[26:27], -v[184:185]
	v_fmac_f64_e32 v[184:185], s[26:27], v[2:3]
	v_add_f64 v[182:183], v[182:183], v[190:191]
	v_mul_f64 v[190:191], v[8:9], s[36:37]
	v_add_f64 v[184:185], v[184:185], v[194:195]
	v_mul_f64 v[194:195], v[176:177], s[40:41]
	v_add_f64 v[186:187], v[186:187], v[196:197]
	v_add_f64 v[188:189], v[188:189], v[198:199]
	v_fma_f64 v[196:197], s[26:27], v[6:7], v[190:191]
	v_fma_f64 v[190:191], v[6:7], s[26:27], -v[190:191]
	v_fma_f64 v[198:199], v[2:3], s[20:21], -v[194:195]
	v_fmac_f64_e32 v[194:195], s[20:21], v[2:3]
	v_add_f64 v[190:191], v[190:191], v[200:201]
	v_mul_f64 v[200:201], v[8:9], s[40:41]
	v_add_f64 v[194:195], v[194:195], v[202:203]
	v_mul_f64 v[202:203], v[176:177], s[8:9]
	v_add_f64 v[196:197], v[196:197], v[204:205]
	v_add_f64 v[198:199], v[198:199], v[206:207]
	v_fma_f64 v[204:205], s[20:21], v[6:7], v[200:201]
	v_fma_f64 v[200:201], v[6:7], s[20:21], -v[200:201]
	v_fma_f64 v[206:207], v[2:3], s[10:11], -v[202:203]
	v_fmac_f64_e32 v[202:203], s[10:11], v[2:3]
	v_add_f64 v[200:201], v[200:201], v[212:213]
	v_mul_f64 v[212:213], v[8:9], s[8:9]
	v_add_f64 v[202:203], v[202:203], v[216:217]
	v_mul_f64 v[216:217], v[176:177], s[44:45]
	v_add_f64 v[204:205], v[204:205], v[218:219]
	v_add_f64 v[206:207], v[206:207], v[220:221]
	v_fma_f64 v[218:219], s[10:11], v[6:7], v[212:213]
	v_fma_f64 v[212:213], v[6:7], s[10:11], -v[212:213]
	v_fma_f64 v[220:221], v[2:3], s[34:35], -v[216:217]
	v_fmac_f64_e32 v[216:217], s[34:35], v[2:3]
	v_mul_f64 v[176:177], v[176:177], s[42:43]
	v_add_f64 v[212:213], v[212:213], v[222:223]
	v_mul_f64 v[222:223], v[8:9], s[44:45]
	v_add_f64 v[216:217], v[216:217], v[224:225]
	v_fma_f64 v[224:225], v[2:3], s[14:15], -v[176:177]
	v_mul_f64 v[8:9], v[8:9], s[42:43]
	v_fmac_f64_e32 v[176:177], s[14:15], v[2:3]
	v_add_f64 v[218:219], v[218:219], v[226:227]
	v_add_f64 v[220:221], v[220:221], v[228:229]
	v_fma_f64 v[226:227], s[34:35], v[6:7], v[222:223]
	v_fma_f64 v[222:223], v[6:7], s[34:35], -v[222:223]
	v_fma_f64 v[228:229], s[14:15], v[6:7], v[8:9]
	v_add_f64 v[2:3], v[176:177], v[4:5]
	v_fma_f64 v[4:5], v[6:7], s[14:15], -v[8:9]
	v_add_f64 v[6:7], v[168:169], v[170:171]
	v_add_f64 v[168:169], v[168:169], -v[170:171]
	v_add_f64 v[0:1], v[4:5], v[0:1]
	v_add_f64 v[4:5], v[172:173], v[174:175]
	v_add_f64 v[8:9], v[172:173], -v[174:175]
	v_mul_f64 v[170:171], v[168:169], s[24:25]
	v_fma_f64 v[172:173], v[4:5], s[26:27], -v[170:171]
	v_mul_f64 v[174:175], v[8:9], s[24:25]
	v_fmac_f64_e32 v[170:171], s[26:27], v[4:5]
	v_add_f64 v[172:173], v[172:173], v[182:183]
	v_fma_f64 v[176:177], s[26:27], v[6:7], v[174:175]
	v_add_f64 v[10:11], v[170:171], v[10:11]
	v_fma_f64 v[170:171], v[6:7], s[26:27], -v[174:175]
	v_mul_f64 v[174:175], v[168:169], s[28:29]
	v_mul_f64 v[182:183], v[8:9], s[28:29]
	v_add_f64 v[176:177], v[176:177], v[186:187]
	v_add_f64 v[170:171], v[170:171], v[178:179]
	v_fma_f64 v[178:179], v[4:5], s[10:11], -v[174:175]
	v_fma_f64 v[186:187], s[10:11], v[6:7], v[182:183]
	v_fmac_f64_e32 v[174:175], s[10:11], v[4:5]
	v_fma_f64 v[182:183], v[6:7], s[10:11], -v[182:183]
	v_add_f64 v[174:175], v[174:175], v[184:185]
	v_add_f64 v[182:183], v[182:183], v[190:191]
	v_mul_f64 v[184:185], v[168:169], s[12:13]
	v_mul_f64 v[190:191], v[8:9], s[12:13]
	v_add_f64 v[178:179], v[178:179], v[188:189]
	v_add_f64 v[186:187], v[186:187], v[196:197]
	v_fma_f64 v[188:189], v[4:5], s[14:15], -v[184:185]
	v_fma_f64 v[196:197], s[14:15], v[6:7], v[190:191]
	v_fmac_f64_e32 v[184:185], s[14:15], v[4:5]
	v_fma_f64 v[190:191], v[6:7], s[14:15], -v[190:191]
	v_add_f64 v[184:185], v[184:185], v[194:195]
	v_add_f64 v[190:191], v[190:191], v[200:201]
	v_mul_f64 v[194:195], v[168:169], s[44:45]
	v_mul_f64 v[200:201], v[8:9], s[44:45]
	v_add_f64 v[238:239], v[238:239], v[246:247]
	v_add_f64 v[188:189], v[188:189], v[198:199]
	;; [unrolled: 1-line block ×3, first 2 shown]
	v_fma_f64 v[198:199], v[4:5], s[34:35], -v[194:195]
	v_fma_f64 v[204:205], s[34:35], v[6:7], v[200:201]
	v_fmac_f64_e32 v[194:195], s[34:35], v[4:5]
	v_fma_f64 v[200:201], v[6:7], s[34:35], -v[200:201]
	v_add_f64 v[230:231], v[230:231], v[238:239]
	v_add_f64 v[194:195], v[194:195], v[202:203]
	;; [unrolled: 1-line block ×3, first 2 shown]
	v_mul_f64 v[202:203], v[168:169], s[40:41]
	v_mul_f64 v[212:213], v[8:9], s[40:41]
	v_add_f64 v[222:223], v[222:223], v[230:231]
	v_add_f64 v[198:199], v[198:199], v[206:207]
	;; [unrolled: 1-line block ×3, first 2 shown]
	v_fma_f64 v[206:207], v[4:5], s[20:21], -v[202:203]
	v_fma_f64 v[218:219], s[20:21], v[6:7], v[212:213]
	v_fmac_f64_e32 v[202:203], s[20:21], v[4:5]
	v_fma_f64 v[212:213], v[6:7], s[20:21], -v[212:213]
	v_mul_f64 v[168:169], v[168:169], s[16:17]
	v_mul_f64 v[8:9], v[8:9], s[16:17]
	v_add_f64 v[202:203], v[202:203], v[216:217]
	v_add_f64 v[212:213], v[212:213], v[222:223]
	v_fma_f64 v[216:217], v[4:5], s[22:23], -v[168:169]
	v_fmac_f64_e32 v[168:169], s[22:23], v[4:5]
	v_fma_f64 v[4:5], v[6:7], s[22:23], -v[8:9]
	v_add_f64 v[222:223], v[160:161], -v[162:163]
	v_add_f64 v[206:207], v[206:207], v[220:221]
	v_fma_f64 v[220:221], s[22:23], v[6:7], v[8:9]
	v_add_f64 v[0:1], v[4:5], v[0:1]
	v_add_f64 v[4:5], v[164:165], v[166:167]
	v_add_f64 v[8:9], v[164:165], -v[166:167]
	v_mul_f64 v[164:165], v[222:223], s[30:31]
	v_add_f64 v[6:7], v[160:161], v[162:163]
	v_fma_f64 v[160:161], v[4:5], s[34:35], -v[164:165]
	v_mul_f64 v[166:167], v[8:9], s[30:31]
	v_fmac_f64_e32 v[164:165], s[34:35], v[4:5]
	v_add_f64 v[164:165], v[164:165], v[10:11]
	v_fma_f64 v[10:11], v[6:7], s[34:35], -v[166:167]
	v_fma_f64 v[162:163], s[34:35], v[6:7], v[166:167]
	v_add_f64 v[166:167], v[10:11], v[170:171]
	v_mul_f64 v[10:11], v[222:223], s[40:41]
	v_add_f64 v[2:3], v[168:169], v[2:3]
	v_add_f64 v[162:163], v[162:163], v[176:177]
	v_fma_f64 v[168:169], v[4:5], s[20:21], -v[10:11]
	v_mul_f64 v[176:177], v[8:9], s[40:41]
	v_fmac_f64_e32 v[10:11], s[20:21], v[4:5]
	v_add_f64 v[160:161], v[160:161], v[172:173]
	v_add_f64 v[172:173], v[10:11], v[174:175]
	v_fma_f64 v[10:11], v[6:7], s[20:21], -v[176:177]
	v_fma_f64 v[170:171], s[20:21], v[6:7], v[176:177]
	v_add_f64 v[174:175], v[10:11], v[182:183]
	v_mul_f64 v[10:11], v[222:223], s[24:25]
	v_add_f64 v[170:171], v[170:171], v[186:187]
	v_fma_f64 v[176:177], v[4:5], s[26:27], -v[10:11]
	v_mul_f64 v[186:187], v[8:9], s[24:25]
	v_fmac_f64_e32 v[10:11], s[26:27], v[4:5]
	v_add_f64 v[182:183], v[10:11], v[184:185]
	v_fma_f64 v[10:11], v[6:7], s[26:27], -v[186:187]
	v_add_f64 v[184:185], v[10:11], v[190:191]
	v_mul_f64 v[10:11], v[222:223], s[42:43]
	v_add_f64 v[168:169], v[168:169], v[178:179]
	v_fma_f64 v[178:179], s[26:27], v[6:7], v[186:187]
	v_fma_f64 v[186:187], v[4:5], s[14:15], -v[10:11]
	v_mul_f64 v[190:191], v[8:9], s[42:43]
	v_fmac_f64_e32 v[10:11], s[14:15], v[4:5]
	v_add_f64 v[194:195], v[10:11], v[194:195]
	v_fma_f64 v[10:11], v[6:7], s[14:15], -v[190:191]
	v_add_f64 v[178:179], v[178:179], v[196:197]
	v_add_f64 v[196:197], v[10:11], v[200:201]
	v_mul_f64 v[10:11], v[222:223], s[16:17]
	v_add_f64 v[176:177], v[176:177], v[188:189]
	v_fma_f64 v[188:189], s[14:15], v[6:7], v[190:191]
	v_fma_f64 v[190:191], v[4:5], s[22:23], -v[10:11]
	v_add_f64 v[240:241], v[240:241], v[250:251]
	v_add_f64 v[186:187], v[186:187], v[198:199]
	;; [unrolled: 1-line block ×3, first 2 shown]
	v_mul_f64 v[190:191], v[8:9], s[16:17]
	v_fmac_f64_e32 v[10:11], s[22:23], v[4:5]
	v_add_f64 v[242:243], v[242:243], v[248:249]
	v_add_f64 v[244:245], v[244:245], v[252:253]
	;; [unrolled: 1-line block ×4, first 2 shown]
	v_fma_f64 v[10:11], v[6:7], s[22:23], -v[190:191]
	v_add_f64 v[234:235], v[234:235], v[242:243]
	v_add_f64 v[236:237], v[236:237], v[244:245]
	;; [unrolled: 1-line block ×5, first 2 shown]
	v_mul_f64 v[10:11], v[222:223], s[28:29]
	v_add_f64 v[226:227], v[226:227], v[234:235]
	v_add_f64 v[228:229], v[228:229], v[236:237]
	v_add_f64 v[216:217], v[216:217], v[224:225]
	v_fma_f64 v[200:201], s[22:23], v[6:7], v[190:191]
	v_fma_f64 v[190:191], v[4:5], s[10:11], -v[10:11]
	v_mul_f64 v[8:9], v[8:9], s[28:29]
	v_add_f64 v[218:219], v[218:219], v[226:227]
	v_add_f64 v[220:221], v[220:221], v[228:229]
	;; [unrolled: 1-line block ×3, first 2 shown]
	v_fma_f64 v[190:191], s[10:11], v[6:7], v[8:9]
	v_fmac_f64_e32 v[10:11], s[10:11], v[4:5]
	v_add_f64 v[200:201], v[200:201], v[218:219]
	v_add_f64 v[218:219], v[190:191], v[220:221]
	;; [unrolled: 1-line block ×3, first 2 shown]
	v_fma_f64 v[2:3], v[6:7], s[10:11], -v[8:9]
	v_add_f64 v[222:223], v[2:3], v[0:1]
	v_add_co_u32_e64 v0, s[0:1], s0, v180
	ds_write_b128 v209, v[156:159]
	ds_write_b128 v209, v[160:163] offset:1040
	ds_write_b128 v209, v[168:171] offset:2080
	;; [unrolled: 1-line block ×12, first 2 shown]
	v_addc_co_u32_e64 v1, s[0:1], 0, v181, s[0:1]
	s_waitcnt lgkmcnt(0)
	s_barrier
	global_load_dwordx4 v[156:159], v[0:1], off offset:1232
	s_mov_b64 s[0:1], 0x34d0
	v_lshl_add_u64 v[0:1], v[180:181], 0, s[0:1]
	global_load_dwordx4 v[160:163], v[0:1], off offset:1040
	global_load_dwordx4 v[164:167], v[0:1], off offset:2080
	;; [unrolled: 1-line block ×3, first 2 shown]
	s_movk_i32 s0, 0x4000
	v_add_co_u32_e64 v0, s[0:1], s0, v180
	s_nop 1
	v_addc_co_u32_e64 v1, s[0:1], 0, v181, s[0:1]
	global_load_dwordx4 v[172:175], v[0:1], off offset:1296
	global_load_dwordx4 v[176:179], v[0:1], off offset:2336
	;; [unrolled: 1-line block ×3, first 2 shown]
	s_movk_i32 s0, 0x5000
	v_add_co_u32_e64 v0, s[0:1], s0, v180
	s_nop 1
	v_addc_co_u32_e64 v1, s[0:1], 0, v181, s[0:1]
	global_load_dwordx4 v[186:189], v[0:1], off offset:320
	global_load_dwordx4 v[194:197], v[0:1], off offset:1360
	global_load_dwordx4 v[198:201], v[0:1], off offset:2400
	global_load_dwordx4 v[202:205], v[0:1], off offset:3440
	s_movk_i32 s0, 0x6000
	v_add_co_u32_e64 v0, s[0:1], s0, v180
	s_nop 1
	v_addc_co_u32_e64 v1, s[0:1], 0, v181, s[0:1]
	global_load_dwordx4 v[216:219], v[0:1], off offset:384
	global_load_dwordx4 v[220:223], v[0:1], off offset:1424
	ds_read_b128 v[224:227], v209
	ds_read_b128 v[228:231], v209 offset:1040
	s_waitcnt vmcnt(12) lgkmcnt(1)
	v_mul_f64 v[0:1], v[226:227], v[158:159]
	v_mul_f64 v[234:235], v[224:225], v[158:159]
	v_fma_f64 v[232:233], v[224:225], v[156:157], -v[0:1]
	v_fmac_f64_e32 v[234:235], v[226:227], v[156:157]
	ds_read_b128 v[224:227], v209 offset:2080
	s_waitcnt vmcnt(11) lgkmcnt(1)
	v_mul_f64 v[0:1], v[230:231], v[162:163]
	v_mul_f64 v[158:159], v[228:229], v[162:163]
	v_fma_f64 v[156:157], v[228:229], v[160:161], -v[0:1]
	v_fmac_f64_e32 v[158:159], v[230:231], v[160:161]
	ds_write_b128 v209, v[156:159] offset:1040
	ds_read_b128 v[156:159], v209 offset:3120
	s_waitcnt vmcnt(10) lgkmcnt(2)
	v_mul_f64 v[0:1], v[226:227], v[166:167]
	v_mul_f64 v[162:163], v[224:225], v[166:167]
	v_fma_f64 v[160:161], v[224:225], v[164:165], -v[0:1]
	v_fmac_f64_e32 v[162:163], v[226:227], v[164:165]
	ds_read_b128 v[164:167], v209 offset:4160
	ds_write_b128 v209, v[160:163] offset:2080
	s_waitcnt vmcnt(9) lgkmcnt(2)
	v_mul_f64 v[0:1], v[158:159], v[170:171]
	v_mul_f64 v[162:163], v[156:157], v[170:171]
	v_fma_f64 v[160:161], v[156:157], v[168:169], -v[0:1]
	v_fmac_f64_e32 v[162:163], v[158:159], v[168:169]
	ds_read_b128 v[156:159], v209 offset:5200
	ds_write_b128 v209, v[160:163] offset:3120
	;; [unrolled: 7-line block ×8, first 2 shown]
	s_waitcnt vmcnt(2) lgkmcnt(3)
	v_mul_f64 v[0:1], v[166:167], v[204:205]
	v_mul_f64 v[162:163], v[164:165], v[204:205]
	v_fma_f64 v[160:161], v[164:165], v[202:203], -v[0:1]
	v_fmac_f64_e32 v[162:163], v[166:167], v[202:203]
	ds_write_b128 v209, v[160:163] offset:10400
	ds_read_b128 v[160:163], v209 offset:12480
	s_waitcnt vmcnt(1) lgkmcnt(3)
	v_mul_f64 v[0:1], v[158:159], v[218:219]
	v_mul_f64 v[166:167], v[156:157], v[218:219]
	v_fma_f64 v[164:165], v[156:157], v[216:217], -v[0:1]
	v_fmac_f64_e32 v[166:167], v[158:159], v[216:217]
	s_waitcnt vmcnt(0) lgkmcnt(0)
	v_mul_f64 v[0:1], v[162:163], v[222:223]
	v_mul_f64 v[158:159], v[160:161], v[222:223]
	v_fma_f64 v[156:157], v[160:161], v[220:221], -v[0:1]
	v_fmac_f64_e32 v[158:159], v[162:163], v[220:221]
	ds_write_b128 v209, v[232:235]
	ds_write_b128 v209, v[164:167] offset:11440
	ds_write_b128 v209, v[156:159] offset:12480
	s_waitcnt lgkmcnt(0)
	s_barrier
	ds_read_b128 v[188:191], v209
	ds_read_b128 v[194:197], v209 offset:1040
	ds_read_b128 v[198:201], v209 offset:2080
	;; [unrolled: 1-line block ×12, first 2 shown]
	s_waitcnt lgkmcnt(11)
	v_add_f64 v[2:3], v[190:191], v[196:197]
	v_add_f64 v[0:1], v[188:189], v[194:195]
	s_waitcnt lgkmcnt(10)
	v_add_f64 v[2:3], v[2:3], v[200:201]
	v_add_f64 v[0:1], v[0:1], v[198:199]
	;; [unrolled: 3-line block ×12, first 2 shown]
	v_add_f64 v[168:169], v[0:1], v[220:221]
	v_add_f64 v[0:1], v[194:195], v[220:221]
	v_add_f64 v[4:5], v[194:195], -v[220:221]
	v_add_f64 v[6:7], v[196:197], -v[222:223]
	v_mul_f64 v[194:195], v[2:3], s[20:21]
	v_mul_f64 v[220:221], v[2:3], s[14:15]
	;; [unrolled: 1-line block ×7, first 2 shown]
	v_fma_f64 v[196:197], s[40:41], v[4:5], v[194:195]
	v_fmac_f64_e32 v[194:195], s[18:19], v[4:5]
	v_mul_f64 v[206:207], v[6:7], s[12:13]
	v_fma_f64 v[222:223], s[42:43], v[4:5], v[220:221]
	v_fmac_f64_e32 v[220:221], s[12:13], v[4:5]
	v_mul_f64 v[224:225], v[6:7], s[8:9]
	;; [unrolled: 3-line block ×5, first 2 shown]
	v_fma_f64 v[250:251], s[44:45], v[4:5], v[2:3]
	v_fmac_f64_e32 v[2:3], s[30:31], v[4:5]
	v_fma_f64 v[10:11], s[20:21], v[0:1], v[8:9]
	v_add_f64 v[196:197], v[190:191], v[196:197]
	v_fma_f64 v[8:9], v[0:1], s[20:21], -v[8:9]
	v_add_f64 v[194:195], v[190:191], v[194:195]
	v_fma_f64 v[212:213], s[14:15], v[0:1], v[206:207]
	v_add_f64 v[222:223], v[190:191], v[222:223]
	v_fma_f64 v[206:207], v[0:1], s[14:15], -v[206:207]
	v_add_f64 v[220:221], v[190:191], v[220:221]
	;; [unrolled: 4-line block ×6, first 2 shown]
	v_add_f64 v[190:191], v[200:201], -v[218:219]
	v_add_f64 v[10:11], v[188:189], v[10:11]
	v_add_f64 v[8:9], v[188:189], v[8:9]
	;; [unrolled: 1-line block ×13, first 2 shown]
	v_add_f64 v[188:189], v[198:199], -v[216:217]
	v_mul_f64 v[198:199], v[190:191], s[12:13]
	v_add_f64 v[6:7], v[200:201], v[218:219]
	v_fma_f64 v[200:201], s[14:15], v[4:5], v[198:199]
	v_add_f64 v[10:11], v[200:201], v[10:11]
	v_mul_f64 v[200:201], v[6:7], s[14:15]
	v_fma_f64 v[198:199], v[4:5], s[14:15], -v[198:199]
	v_fma_f64 v[216:217], s[42:43], v[188:189], v[200:201]
	v_add_f64 v[8:9], v[198:199], v[8:9]
	v_fmac_f64_e32 v[200:201], s[12:13], v[188:189]
	v_mul_f64 v[198:199], v[190:191], s[16:17]
	v_add_f64 v[194:195], v[200:201], v[194:195]
	v_fma_f64 v[200:201], s[22:23], v[4:5], v[198:199]
	v_add_f64 v[200:201], v[200:201], v[212:213]
	v_mul_f64 v[212:213], v[6:7], s[22:23]
	v_add_f64 v[196:197], v[216:217], v[196:197]
	v_fma_f64 v[216:217], s[38:39], v[188:189], v[212:213]
	v_fma_f64 v[198:199], v[4:5], s[22:23], -v[198:199]
	v_fmac_f64_e32 v[212:213], s[16:17], v[188:189]
	v_add_f64 v[198:199], v[198:199], v[206:207]
	v_add_f64 v[206:207], v[212:213], v[220:221]
	v_mul_f64 v[212:213], v[190:191], s[30:31]
	v_fma_f64 v[218:219], s[34:35], v[4:5], v[212:213]
	v_mul_f64 v[220:221], v[6:7], s[34:35]
	v_fma_f64 v[212:213], v[4:5], s[34:35], -v[212:213]
	v_add_f64 v[216:217], v[216:217], v[222:223]
	v_fma_f64 v[222:223], s[44:45], v[188:189], v[220:221]
	v_add_f64 v[212:213], v[212:213], v[224:225]
	v_fmac_f64_e32 v[220:221], s[30:31], v[188:189]
	v_mul_f64 v[224:225], v[190:191], s[36:37]
	v_add_f64 v[218:219], v[218:219], v[226:227]
	v_add_f64 v[220:221], v[220:221], v[228:229]
	v_fma_f64 v[226:227], s[26:27], v[4:5], v[224:225]
	v_mul_f64 v[228:229], v[6:7], s[26:27]
	v_fma_f64 v[224:225], v[4:5], s[26:27], -v[224:225]
	v_add_f64 v[222:223], v[222:223], v[230:231]
	v_fma_f64 v[230:231], s[24:25], v[188:189], v[228:229]
	v_add_f64 v[224:225], v[224:225], v[232:233]
	v_fmac_f64_e32 v[228:229], s[36:37], v[188:189]
	v_mul_f64 v[232:233], v[190:191], s[28:29]
	v_add_f64 v[226:227], v[226:227], v[234:235]
	v_add_f64 v[228:229], v[228:229], v[236:237]
	v_fma_f64 v[234:235], s[10:11], v[4:5], v[232:233]
	v_mul_f64 v[236:237], v[6:7], s[10:11]
	v_mul_f64 v[6:7], v[6:7], s[20:21]
	v_add_f64 v[234:235], v[234:235], v[242:243]
	v_fma_f64 v[232:233], v[4:5], s[10:11], -v[232:233]
	v_mul_f64 v[190:191], v[190:191], s[40:41]
	v_fma_f64 v[242:243], s[18:19], v[188:189], v[6:7]
	v_fmac_f64_e32 v[6:7], s[40:41], v[188:189]
	v_add_f64 v[232:233], v[232:233], v[240:241]
	v_fma_f64 v[240:241], s[20:21], v[4:5], v[190:191]
	v_fma_f64 v[4:5], v[4:5], s[20:21], -v[190:191]
	v_add_f64 v[2:3], v[6:7], v[2:3]
	v_add_f64 v[6:7], v[186:187], v[204:205]
	v_add_f64 v[186:187], v[186:187], -v[204:205]
	v_add_f64 v[230:231], v[230:231], v[238:239]
	v_fma_f64 v[238:239], s[8:9], v[188:189], v[236:237]
	v_fmac_f64_e32 v[236:237], s[28:29], v[188:189]
	v_add_f64 v[0:1], v[4:5], v[0:1]
	v_add_f64 v[4:5], v[184:185], v[202:203]
	v_mul_f64 v[188:189], v[186:187], s[8:9]
	v_fma_f64 v[190:191], s[10:11], v[4:5], v[188:189]
	v_add_f64 v[184:185], v[184:185], -v[202:203]
	v_add_f64 v[10:11], v[190:191], v[10:11]
	v_mul_f64 v[190:191], v[6:7], s[10:11]
	v_fma_f64 v[202:203], s[28:29], v[184:185], v[190:191]
	v_fma_f64 v[188:189], v[4:5], s[10:11], -v[188:189]
	v_fmac_f64_e32 v[190:191], s[8:9], v[184:185]
	v_add_f64 v[8:9], v[188:189], v[8:9]
	v_add_f64 v[188:189], v[190:191], v[194:195]
	v_mul_f64 v[190:191], v[186:187], s[30:31]
	v_fma_f64 v[194:195], s[34:35], v[4:5], v[190:191]
	v_add_f64 v[194:195], v[194:195], v[200:201]
	v_mul_f64 v[200:201], v[6:7], s[34:35]
	v_add_f64 v[196:197], v[202:203], v[196:197]
	v_fma_f64 v[202:203], s[44:45], v[184:185], v[200:201]
	v_fma_f64 v[190:191], v[4:5], s[34:35], -v[190:191]
	v_fmac_f64_e32 v[200:201], s[30:31], v[184:185]
	v_add_f64 v[190:191], v[190:191], v[198:199]
	v_add_f64 v[198:199], v[200:201], v[206:207]
	v_mul_f64 v[200:201], v[186:187], s[38:39]
	v_fma_f64 v[204:205], s[22:23], v[4:5], v[200:201]
	v_mul_f64 v[206:207], v[6:7], s[22:23]
	v_fma_f64 v[200:201], v[4:5], s[22:23], -v[200:201]
	v_add_f64 v[202:203], v[202:203], v[216:217]
	v_fma_f64 v[216:217], s[16:17], v[184:185], v[206:207]
	v_add_f64 v[200:201], v[200:201], v[212:213]
	v_fmac_f64_e32 v[206:207], s[38:39], v[184:185]
	v_mul_f64 v[212:213], v[186:187], s[40:41]
	v_add_f64 v[204:205], v[204:205], v[218:219]
	v_add_f64 v[206:207], v[206:207], v[220:221]
	v_fma_f64 v[218:219], s[20:21], v[4:5], v[212:213]
	v_mul_f64 v[220:221], v[6:7], s[20:21]
	v_fma_f64 v[212:213], v[4:5], s[20:21], -v[212:213]
	v_add_f64 v[216:217], v[216:217], v[222:223]
	v_fma_f64 v[222:223], s[18:19], v[184:185], v[220:221]
	v_add_f64 v[212:213], v[212:213], v[224:225]
	v_fmac_f64_e32 v[220:221], s[40:41], v[184:185]
	v_mul_f64 v[224:225], v[186:187], s[12:13]
	v_add_f64 v[218:219], v[218:219], v[226:227]
	v_add_f64 v[220:221], v[220:221], v[228:229]
	v_fma_f64 v[226:227], s[14:15], v[4:5], v[224:225]
	v_mul_f64 v[228:229], v[6:7], s[14:15]
	v_mul_f64 v[6:7], v[6:7], s[26:27]
	v_add_f64 v[226:227], v[226:227], v[234:235]
	v_fma_f64 v[224:225], v[4:5], s[14:15], -v[224:225]
	v_mul_f64 v[186:187], v[186:187], s[24:25]
	v_fma_f64 v[234:235], s[36:37], v[184:185], v[6:7]
	v_fmac_f64_e32 v[6:7], s[24:25], v[184:185]
	v_add_f64 v[224:225], v[224:225], v[232:233]
	v_fma_f64 v[232:233], s[26:27], v[4:5], v[186:187]
	v_fma_f64 v[4:5], v[4:5], s[26:27], -v[186:187]
	v_add_f64 v[2:3], v[6:7], v[2:3]
	v_add_f64 v[6:7], v[178:179], v[182:183]
	v_add_f64 v[178:179], v[178:179], -v[182:183]
	v_add_f64 v[0:1], v[4:5], v[0:1]
	v_add_f64 v[4:5], v[176:177], v[180:181]
	v_add_f64 v[176:177], v[176:177], -v[180:181]
	v_mul_f64 v[180:181], v[178:179], s[16:17]
	v_fma_f64 v[182:183], s[22:23], v[4:5], v[180:181]
	v_add_f64 v[10:11], v[182:183], v[10:11]
	v_mul_f64 v[182:183], v[6:7], s[22:23]
	v_add_f64 v[222:223], v[222:223], v[230:231]
	v_fma_f64 v[230:231], s[42:43], v[184:185], v[228:229]
	v_fmac_f64_e32 v[228:229], s[12:13], v[184:185]
	v_fma_f64 v[184:185], s[38:39], v[176:177], v[182:183]
	v_fma_f64 v[180:181], v[4:5], s[22:23], -v[180:181]
	v_fmac_f64_e32 v[182:183], s[16:17], v[176:177]
	v_add_f64 v[8:9], v[180:181], v[8:9]
	v_add_f64 v[180:181], v[182:183], v[188:189]
	v_mul_f64 v[182:183], v[178:179], s[36:37]
	v_fma_f64 v[186:187], s[26:27], v[4:5], v[182:183]
	v_mul_f64 v[188:189], v[6:7], s[26:27]
	v_fma_f64 v[182:183], v[4:5], s[26:27], -v[182:183]
	v_add_f64 v[186:187], v[186:187], v[194:195]
	v_fma_f64 v[194:195], s[24:25], v[176:177], v[188:189]
	v_add_f64 v[182:183], v[182:183], v[190:191]
	v_fmac_f64_e32 v[188:189], s[36:37], v[176:177]
	v_mul_f64 v[190:191], v[178:179], s[40:41]
	v_add_f64 v[184:185], v[184:185], v[196:197]
	v_add_f64 v[188:189], v[188:189], v[198:199]
	v_fma_f64 v[196:197], s[20:21], v[4:5], v[190:191]
	v_mul_f64 v[198:199], v[6:7], s[20:21]
	v_fma_f64 v[190:191], v[4:5], s[20:21], -v[190:191]
	v_add_f64 v[194:195], v[194:195], v[202:203]
	v_fma_f64 v[202:203], s[18:19], v[176:177], v[198:199]
	v_add_f64 v[190:191], v[190:191], v[200:201]
	v_fmac_f64_e32 v[198:199], s[40:41], v[176:177]
	v_mul_f64 v[200:201], v[178:179], s[8:9]
	v_add_f64 v[196:197], v[196:197], v[204:205]
	v_add_f64 v[198:199], v[198:199], v[206:207]
	;; [unrolled: 10-line block ×3, first 2 shown]
	v_fma_f64 v[218:219], s[34:35], v[4:5], v[212:213]
	v_mul_f64 v[220:221], v[6:7], s[34:35]
	v_mul_f64 v[6:7], v[6:7], s[14:15]
	v_add_f64 v[218:219], v[218:219], v[226:227]
	v_fma_f64 v[212:213], v[4:5], s[34:35], -v[212:213]
	v_mul_f64 v[178:179], v[178:179], s[42:43]
	v_fma_f64 v[226:227], s[12:13], v[176:177], v[6:7]
	v_fmac_f64_e32 v[6:7], s[42:43], v[176:177]
	v_add_f64 v[212:213], v[212:213], v[224:225]
	v_fma_f64 v[224:225], s[14:15], v[4:5], v[178:179]
	v_fma_f64 v[4:5], v[4:5], s[14:15], -v[178:179]
	v_add_f64 v[2:3], v[6:7], v[2:3]
	v_add_f64 v[6:7], v[166:167], v[174:175]
	v_add_f64 v[166:167], v[166:167], -v[174:175]
	v_add_f64 v[0:1], v[4:5], v[0:1]
	v_add_f64 v[4:5], v[164:165], v[172:173]
	v_add_f64 v[164:165], v[164:165], -v[172:173]
	v_mul_f64 v[172:173], v[166:167], s[24:25]
	v_fma_f64 v[174:175], s[26:27], v[4:5], v[172:173]
	v_add_f64 v[10:11], v[174:175], v[10:11]
	v_mul_f64 v[174:175], v[6:7], s[26:27]
	v_fma_f64 v[172:173], v[4:5], s[26:27], -v[172:173]
	v_add_f64 v[216:217], v[216:217], v[222:223]
	v_fma_f64 v[222:223], s[30:31], v[176:177], v[220:221]
	v_fmac_f64_e32 v[220:221], s[44:45], v[176:177]
	v_fma_f64 v[176:177], s[36:37], v[164:165], v[174:175]
	v_add_f64 v[8:9], v[172:173], v[8:9]
	v_fmac_f64_e32 v[174:175], s[24:25], v[164:165]
	v_mul_f64 v[172:173], v[166:167], s[28:29]
	v_add_f64 v[178:179], v[174:175], v[180:181]
	v_fma_f64 v[174:175], s[10:11], v[4:5], v[172:173]
	v_add_f64 v[180:181], v[174:175], v[186:187]
	v_mul_f64 v[174:175], v[6:7], s[10:11]
	v_fma_f64 v[172:173], v[4:5], s[10:11], -v[172:173]
	v_add_f64 v[176:177], v[176:177], v[184:185]
	v_fma_f64 v[184:185], s[8:9], v[164:165], v[174:175]
	v_add_f64 v[182:183], v[172:173], v[182:183]
	v_fmac_f64_e32 v[174:175], s[28:29], v[164:165]
	v_mul_f64 v[172:173], v[166:167], s[12:13]
	v_add_f64 v[186:187], v[174:175], v[188:189]
	v_fma_f64 v[174:175], s[14:15], v[4:5], v[172:173]
	v_add_f64 v[188:189], v[174:175], v[196:197]
	v_mul_f64 v[174:175], v[6:7], s[14:15]
	v_fma_f64 v[172:173], v[4:5], s[14:15], -v[172:173]
	v_add_f64 v[184:185], v[184:185], v[194:195]
	;; [unrolled: 10-line block ×3, first 2 shown]
	v_fma_f64 v[202:203], s[30:31], v[164:165], v[174:175]
	v_add_f64 v[200:201], v[172:173], v[200:201]
	v_fmac_f64_e32 v[174:175], s[44:45], v[164:165]
	v_mul_f64 v[172:173], v[166:167], s[40:41]
	v_add_f64 v[236:237], v[236:237], v[244:245]
	v_add_f64 v[240:241], v[240:241], v[248:249]
	;; [unrolled: 1-line block ×3, first 2 shown]
	v_fma_f64 v[174:175], s[20:21], v[4:5], v[172:173]
	v_add_f64 v[238:239], v[238:239], v[246:247]
	v_add_f64 v[242:243], v[242:243], v[250:251]
	;; [unrolled: 1-line block ×5, first 2 shown]
	v_mul_f64 v[174:175], v[6:7], s[20:21]
	v_fma_f64 v[172:173], v[4:5], s[20:21], -v[172:173]
	v_mul_f64 v[166:167], v[166:167], s[16:17]
	v_add_f64 v[230:231], v[230:231], v[238:239]
	v_add_f64 v[234:235], v[234:235], v[242:243]
	;; [unrolled: 1-line block ×5, first 2 shown]
	v_fma_f64 v[216:217], s[18:19], v[164:165], v[174:175]
	v_add_f64 v[212:213], v[172:173], v[212:213]
	v_fmac_f64_e32 v[174:175], s[40:41], v[164:165]
	v_fma_f64 v[172:173], s[22:23], v[4:5], v[166:167]
	v_mul_f64 v[6:7], v[6:7], s[22:23]
	v_add_f64 v[222:223], v[222:223], v[230:231]
	v_add_f64 v[226:227], v[226:227], v[234:235]
	v_add_f64 v[218:219], v[174:175], v[220:221]
	v_add_f64 v[220:221], v[172:173], v[224:225]
	v_fma_f64 v[172:173], s[38:39], v[164:165], v[6:7]
	v_add_f64 v[216:217], v[216:217], v[222:223]
	v_add_f64 v[222:223], v[172:173], v[226:227]
	v_fma_f64 v[4:5], v[4:5], s[22:23], -v[166:167]
	v_add_f64 v[226:227], v[158:159], -v[162:163]
	v_add_f64 v[0:1], v[4:5], v[0:1]
	v_fmac_f64_e32 v[6:7], s[16:17], v[164:165]
	v_add_f64 v[4:5], v[156:157], v[160:161]
	v_add_f64 v[224:225], v[156:157], -v[160:161]
	v_mul_f64 v[156:157], v[226:227], s[30:31]
	v_add_f64 v[2:3], v[6:7], v[2:3]
	v_add_f64 v[6:7], v[158:159], v[162:163]
	v_fma_f64 v[158:159], s[34:35], v[4:5], v[156:157]
	v_add_f64 v[172:173], v[158:159], v[10:11]
	v_mul_f64 v[10:11], v[6:7], s[34:35]
	v_fma_f64 v[156:157], v[4:5], s[34:35], -v[156:157]
	v_fma_f64 v[158:159], s[44:45], v[224:225], v[10:11]
	v_add_f64 v[164:165], v[156:157], v[8:9]
	v_fmac_f64_e32 v[10:11], s[30:31], v[224:225]
	v_mul_f64 v[8:9], v[226:227], s[40:41]
	v_add_f64 v[166:167], v[10:11], v[178:179]
	v_fma_f64 v[10:11], s[20:21], v[4:5], v[8:9]
	v_add_f64 v[174:175], v[158:159], v[176:177]
	v_add_f64 v[176:177], v[10:11], v[180:181]
	v_mul_f64 v[10:11], v[6:7], s[20:21]
	v_fma_f64 v[8:9], v[4:5], s[20:21], -v[8:9]
	v_fma_f64 v[156:157], s[18:19], v[224:225], v[10:11]
	v_add_f64 v[160:161], v[8:9], v[182:183]
	v_fmac_f64_e32 v[10:11], s[40:41], v[224:225]
	v_mul_f64 v[8:9], v[226:227], s[24:25]
	v_add_f64 v[162:163], v[10:11], v[186:187]
	v_fma_f64 v[10:11], s[26:27], v[4:5], v[8:9]
	v_add_f64 v[180:181], v[10:11], v[188:189]
	v_mul_f64 v[10:11], v[6:7], s[26:27]
	v_add_f64 v[178:179], v[156:157], v[184:185]
	v_fma_f64 v[156:157], s[36:37], v[224:225], v[10:11]
	v_fma_f64 v[8:9], v[4:5], s[26:27], -v[8:9]
	v_add_f64 v[182:183], v[156:157], v[194:195]
	v_add_f64 v[156:157], v[8:9], v[190:191]
	v_fmac_f64_e32 v[10:11], s[24:25], v[224:225]
	v_mul_f64 v[8:9], v[226:227], s[42:43]
	v_add_f64 v[158:159], v[10:11], v[196:197]
	v_fma_f64 v[10:11], s[14:15], v[4:5], v[8:9]
	v_add_f64 v[184:185], v[10:11], v[198:199]
	v_mul_f64 v[10:11], v[6:7], s[14:15]
	v_fma_f64 v[8:9], v[4:5], s[14:15], -v[8:9]
	v_fma_f64 v[186:187], s[12:13], v[224:225], v[10:11]
	v_add_f64 v[188:189], v[8:9], v[200:201]
	v_fmac_f64_e32 v[10:11], s[42:43], v[224:225]
	v_mul_f64 v[8:9], v[226:227], s[16:17]
	v_add_f64 v[190:191], v[10:11], v[204:205]
	v_fma_f64 v[10:11], s[22:23], v[4:5], v[8:9]
	v_add_f64 v[194:195], v[10:11], v[206:207]
	v_mul_f64 v[10:11], v[6:7], s[22:23]
	v_fma_f64 v[8:9], v[4:5], s[22:23], -v[8:9]
	v_fma_f64 v[196:197], s[38:39], v[224:225], v[10:11]
	v_add_f64 v[198:199], v[8:9], v[212:213]
	v_fmac_f64_e32 v[10:11], s[16:17], v[224:225]
	v_mul_f64 v[8:9], v[226:227], s[28:29]
	v_add_f64 v[200:201], v[10:11], v[218:219]
	v_fma_f64 v[10:11], s[10:11], v[4:5], v[8:9]
	v_mul_f64 v[6:7], v[6:7], s[10:11]
	v_add_f64 v[186:187], v[186:187], v[202:203]
	v_add_f64 v[202:203], v[10:11], v[220:221]
	v_fma_f64 v[10:11], s[8:9], v[224:225], v[6:7]
	v_add_f64 v[196:197], v[196:197], v[216:217]
	v_add_f64 v[204:205], v[10:11], v[222:223]
	v_fma_f64 v[4:5], v[4:5], s[10:11], -v[8:9]
	v_fmac_f64_e32 v[6:7], s[28:29], v[224:225]
	v_add_f64 v[216:217], v[4:5], v[0:1]
	v_add_f64 v[218:219], v[6:7], v[2:3]
	s_barrier
	ds_write_b128 v192, v[168:171]
	ds_write_b128 v192, v[172:175] offset:16
	ds_write_b128 v192, v[176:179] offset:32
	;; [unrolled: 1-line block ×12, first 2 shown]
	s_waitcnt lgkmcnt(0)
	s_barrier
	ds_read_b128 v[172:175], v209
	ds_read_b128 v[168:171], v209 offset:1040
	ds_read_b128 v[204:207], v209 offset:2704
	;; [unrolled: 1-line block ×9, first 2 shown]
	s_and_saveexec_b64 s[0:1], vcc
	s_cbranch_execz .LBB0_7
; %bb.6:
	ds_read_b128 v[156:159], v209 offset:2080
	ds_read_b128 v[160:163], v209 offset:4784
	;; [unrolled: 1-line block ×5, first 2 shown]
.LBB0_7:
	s_or_b64 exec, exec, s[0:1]
	s_waitcnt lgkmcnt(5)
	v_mul_f64 v[4:5], v[78:79], v[202:203]
	s_waitcnt lgkmcnt(3)
	v_mul_f64 v[8:9], v[74:75], v[198:199]
	v_mul_f64 v[2:3], v[82:83], v[204:205]
	v_fmac_f64_e32 v[4:5], v[76:77], v[200:201]
	v_mul_f64 v[6:7], v[78:79], v[200:201]
	v_fmac_f64_e32 v[8:9], v[72:73], v[196:197]
	s_waitcnt lgkmcnt(1)
	v_mul_f64 v[78:79], v[70:71], v[194:195]
	v_mul_f64 v[70:71], v[70:71], v[192:193]
	;; [unrolled: 1-line block ×3, first 2 shown]
	v_fma_f64 v[2:3], v[80:81], v[206:207], -v[2:3]
	v_mul_f64 v[10:11], v[74:75], v[196:197]
	v_fmac_f64_e32 v[78:79], v[68:69], v[192:193]
	v_fma_f64 v[192:193], v[68:69], v[194:195], -v[70:71]
	v_add_f64 v[70:71], v[4:5], v[8:9]
	s_mov_b32 s0, 0x134454ff
	v_fmac_f64_e32 v[0:1], v[80:81], v[204:205]
	v_fma_f64 v[6:7], v[76:77], v[202:203], -v[6:7]
	v_fma_f64 v[10:11], v[72:73], v[198:199], -v[10:11]
	v_mul_f64 v[194:195], v[98:99], v[190:191]
	v_mul_f64 v[68:69], v[98:99], v[188:189]
	v_fma_f64 v[72:73], -0.5, v[70:71], v[172:173]
	v_add_f64 v[70:71], v[2:3], -v[192:193]
	s_mov_b32 s1, 0xbfee6f0e
	s_mov_b32 s8, 0x4755a5e
	;; [unrolled: 1-line block ×4, first 2 shown]
	v_fmac_f64_e32 v[194:195], v[96:97], v[188:189]
	v_fma_f64 v[188:189], v[96:97], v[190:191], -v[68:69]
	v_mul_f64 v[98:99], v[90:91], v[186:187]
	v_mul_f64 v[68:69], v[90:91], v[184:185]
	v_fma_f64 v[76:77], s[0:1], v[70:71], v[72:73]
	v_add_f64 v[74:75], v[6:7], -v[10:11]
	s_mov_b32 s9, 0xbfe2cf23
	v_add_f64 v[80:81], v[0:1], -v[4:5]
	v_add_f64 v[82:83], v[78:79], -v[8:9]
	s_mov_b32 s10, 0x372fe950
	v_fmac_f64_e32 v[72:73], s[12:13], v[70:71]
	s_mov_b32 s15, 0x3fe2cf23
	s_mov_b32 s14, s8
	v_fmac_f64_e32 v[98:99], v[88:89], v[184:185]
	v_fma_f64 v[184:185], v[88:89], v[186:187], -v[68:69]
	v_mul_f64 v[186:187], v[94:95], v[182:183]
	v_mul_f64 v[68:69], v[94:95], v[180:181]
	v_fmac_f64_e32 v[76:77], s[8:9], v[74:75]
	v_add_f64 v[80:81], v[80:81], v[82:83]
	s_mov_b32 s11, 0x3fd3c6ef
	v_fmac_f64_e32 v[72:73], s[14:15], v[74:75]
	v_fmac_f64_e32 v[186:187], v[92:93], v[180:181]
	v_fma_f64 v[180:181], v[92:93], v[182:183], -v[68:69]
	s_waitcnt lgkmcnt(0)
	v_mul_f64 v[94:95], v[86:87], v[178:179]
	v_mul_f64 v[68:69], v[86:87], v[176:177]
	v_fmac_f64_e32 v[76:77], s[10:11], v[80:81]
	v_fmac_f64_e32 v[72:73], s[10:11], v[80:81]
	v_add_f64 v[80:81], v[0:1], v[78:79]
	v_fmac_f64_e32 v[94:95], v[84:85], v[176:177]
	v_fma_f64 v[176:177], v[84:85], v[178:179], -v[68:69]
	v_add_f64 v[68:69], v[172:173], v[0:1]
	v_fmac_f64_e32 v[172:173], -0.5, v[80:81]
	v_add_f64 v[68:69], v[68:69], v[4:5]
	v_fma_f64 v[80:81], s[12:13], v[74:75], v[172:173]
	v_add_f64 v[82:83], v[4:5], -v[0:1]
	v_add_f64 v[84:85], v[8:9], -v[78:79]
	v_fmac_f64_e32 v[172:173], s[0:1], v[74:75]
	v_add_f64 v[74:75], v[6:7], v[10:11]
	v_add_f64 v[68:69], v[68:69], v[8:9]
	v_fmac_f64_e32 v[80:81], s[8:9], v[70:71]
	v_add_f64 v[82:83], v[82:83], v[84:85]
	v_fmac_f64_e32 v[172:173], s[14:15], v[70:71]
	v_fma_f64 v[74:75], -0.5, v[74:75], v[174:175]
	v_add_f64 v[0:1], v[0:1], -v[78:79]
	v_add_f64 v[68:69], v[68:69], v[78:79]
	v_fmac_f64_e32 v[80:81], s[10:11], v[82:83]
	v_fmac_f64_e32 v[172:173], s[10:11], v[82:83]
	v_fma_f64 v[78:79], s[12:13], v[0:1], v[74:75]
	v_add_f64 v[4:5], v[4:5], -v[8:9]
	v_add_f64 v[8:9], v[2:3], -v[6:7]
	;; [unrolled: 1-line block ×3, first 2 shown]
	v_fmac_f64_e32 v[74:75], s[0:1], v[0:1]
	v_fmac_f64_e32 v[78:79], s[14:15], v[4:5]
	v_add_f64 v[8:9], v[8:9], v[82:83]
	v_fmac_f64_e32 v[74:75], s[8:9], v[4:5]
	v_fmac_f64_e32 v[78:79], s[10:11], v[8:9]
	;; [unrolled: 1-line block ×3, first 2 shown]
	v_add_f64 v[8:9], v[2:3], v[192:193]
	v_add_f64 v[70:71], v[174:175], v[2:3]
	v_fmac_f64_e32 v[174:175], -0.5, v[8:9]
	v_fma_f64 v[82:83], s[0:1], v[4:5], v[174:175]
	v_fmac_f64_e32 v[174:175], s[12:13], v[4:5]
	v_fmac_f64_e32 v[82:83], s[14:15], v[0:1]
	;; [unrolled: 1-line block ×3, first 2 shown]
	v_add_f64 v[0:1], v[168:169], v[194:195]
	v_add_f64 v[0:1], v[0:1], v[98:99]
	;; [unrolled: 1-line block ×4, first 2 shown]
	v_add_f64 v[2:3], v[6:7], -v[2:3]
	v_add_f64 v[6:7], v[10:11], -v[192:193]
	v_add_f64 v[84:85], v[0:1], v[94:95]
	v_add_f64 v[0:1], v[98:99], v[186:187]
	;; [unrolled: 1-line block ×3, first 2 shown]
	v_fma_f64 v[88:89], -0.5, v[0:1], v[168:169]
	v_add_f64 v[0:1], v[188:189], -v[176:177]
	v_fmac_f64_e32 v[82:83], s[10:11], v[2:3]
	v_fmac_f64_e32 v[174:175], s[10:11], v[2:3]
	v_fma_f64 v[92:93], s[0:1], v[0:1], v[88:89]
	v_add_f64 v[2:3], v[184:185], -v[180:181]
	v_add_f64 v[4:5], v[194:195], -v[98:99]
	;; [unrolled: 1-line block ×3, first 2 shown]
	v_fmac_f64_e32 v[88:89], s[12:13], v[0:1]
	v_fmac_f64_e32 v[92:93], s[8:9], v[2:3]
	v_add_f64 v[4:5], v[4:5], v[6:7]
	v_fmac_f64_e32 v[88:89], s[14:15], v[2:3]
	v_fmac_f64_e32 v[92:93], s[10:11], v[4:5]
	;; [unrolled: 1-line block ×3, first 2 shown]
	v_add_f64 v[4:5], v[194:195], v[94:95]
	v_fmac_f64_e32 v[168:169], -0.5, v[4:5]
	v_fma_f64 v[96:97], s[12:13], v[2:3], v[168:169]
	v_fmac_f64_e32 v[168:169], s[0:1], v[2:3]
	v_fmac_f64_e32 v[96:97], s[8:9], v[0:1]
	;; [unrolled: 1-line block ×3, first 2 shown]
	v_add_f64 v[0:1], v[170:171], v[188:189]
	v_add_f64 v[0:1], v[0:1], v[184:185]
	;; [unrolled: 1-line block ×3, first 2 shown]
	v_add_f64 v[4:5], v[98:99], -v[194:195]
	v_add_f64 v[6:7], v[186:187], -v[94:95]
	v_add_f64 v[86:87], v[0:1], v[176:177]
	v_add_f64 v[0:1], v[184:185], v[180:181]
	;; [unrolled: 1-line block ×3, first 2 shown]
	v_fma_f64 v[90:91], -0.5, v[0:1], v[170:171]
	v_add_f64 v[0:1], v[194:195], -v[94:95]
	v_fmac_f64_e32 v[96:97], s[10:11], v[4:5]
	v_fmac_f64_e32 v[168:169], s[10:11], v[4:5]
	v_fma_f64 v[94:95], s[12:13], v[0:1], v[90:91]
	v_add_f64 v[2:3], v[98:99], -v[186:187]
	v_add_f64 v[4:5], v[188:189], -v[184:185]
	;; [unrolled: 1-line block ×3, first 2 shown]
	v_fmac_f64_e32 v[90:91], s[0:1], v[0:1]
	v_fmac_f64_e32 v[94:95], s[14:15], v[2:3]
	v_add_f64 v[4:5], v[4:5], v[6:7]
	v_fmac_f64_e32 v[90:91], s[8:9], v[2:3]
	v_fmac_f64_e32 v[94:95], s[10:11], v[4:5]
	v_fmac_f64_e32 v[90:91], s[10:11], v[4:5]
	v_add_f64 v[4:5], v[188:189], v[176:177]
	v_fmac_f64_e32 v[170:171], -0.5, v[4:5]
	v_add_f64 v[70:71], v[70:71], v[10:11]
	v_fma_f64 v[98:99], s[0:1], v[2:3], v[170:171]
	v_add_f64 v[4:5], v[184:185], -v[188:189]
	v_add_f64 v[6:7], v[180:181], -v[176:177]
	v_fmac_f64_e32 v[170:171], s[12:13], v[2:3]
	v_add_f64 v[70:71], v[70:71], v[192:193]
	v_fmac_f64_e32 v[98:99], s[14:15], v[0:1]
	v_add_f64 v[4:5], v[4:5], v[6:7]
	v_fmac_f64_e32 v[170:171], s[8:9], v[0:1]
	v_fmac_f64_e32 v[98:99], s[10:11], v[4:5]
	;; [unrolled: 1-line block ×3, first 2 shown]
	s_barrier
	ds_write_b128 v214, v[68:71]
	ds_write_b128 v214, v[76:79] offset:208
	ds_write_b128 v214, v[80:83] offset:416
	;; [unrolled: 1-line block ×4, first 2 shown]
	ds_write_b128 v215, v[84:87]
	ds_write_b128 v215, v[92:95] offset:208
	ds_write_b128 v215, v[96:99] offset:416
	;; [unrolled: 1-line block ×4, first 2 shown]
	s_and_saveexec_b64 s[16:17], vcc
	s_cbranch_execz .LBB0_9
; %bb.8:
	v_mul_f64 v[0:1], v[66:67], v[164:165]
	v_mul_f64 v[2:3], v[58:59], v[160:161]
	;; [unrolled: 1-line block ×4, first 2 shown]
	v_fma_f64 v[0:1], v[64:65], v[166:167], -v[0:1]
	v_fma_f64 v[2:3], v[56:57], v[162:163], -v[2:3]
	;; [unrolled: 1-line block ×4, first 2 shown]
	v_add_f64 v[4:5], v[0:1], -v[2:3]
	v_add_f64 v[10:11], v[6:7], -v[8:9]
	v_add_f64 v[4:5], v[4:5], v[10:11]
	v_mul_f64 v[10:11], v[66:67], v[166:167]
	v_mul_f64 v[70:71], v[62:63], v[106:107]
	;; [unrolled: 1-line block ×3, first 2 shown]
	v_fmac_f64_e32 v[10:11], v[64:65], v[164:165]
	v_fmac_f64_e32 v[70:71], v[60:61], v[104:105]
	v_add_f64 v[60:61], v[2:3], v[8:9]
	v_fmac_f64_e32 v[74:75], v[56:57], v[160:161]
	v_mul_f64 v[56:57], v[54:55], v[102:103]
	v_add_f64 v[62:63], v[10:11], -v[70:71]
	v_fma_f64 v[60:61], -0.5, v[60:61], v[158:159]
	v_fmac_f64_e32 v[56:57], v[52:53], v[100:101]
	v_fma_f64 v[64:65], s[12:13], v[62:63], v[60:61]
	v_add_f64 v[52:53], v[74:75], -v[56:57]
	v_fmac_f64_e32 v[60:61], s[0:1], v[62:63]
	v_fmac_f64_e32 v[64:65], s[8:9], v[52:53]
	;; [unrolled: 1-line block ×5, first 2 shown]
	v_add_f64 v[4:5], v[2:3], -v[0:1]
	v_add_f64 v[54:55], v[8:9], -v[6:7]
	v_add_f64 v[4:5], v[4:5], v[54:55]
	v_add_f64 v[54:55], v[0:1], v[6:7]
	v_fma_f64 v[54:55], -0.5, v[54:55], v[158:159]
	v_fma_f64 v[68:69], s[0:1], v[52:53], v[54:55]
	v_fmac_f64_e32 v[54:55], s[12:13], v[52:53]
	v_fmac_f64_e32 v[68:69], s[8:9], v[62:63]
	;; [unrolled: 1-line block ×5, first 2 shown]
	v_add_f64 v[4:5], v[158:159], v[2:3]
	v_add_f64 v[4:5], v[4:5], v[0:1]
	;; [unrolled: 1-line block ×4, first 2 shown]
	v_add_f64 v[2:3], v[2:3], -v[8:9]
	v_add_f64 v[8:9], v[74:75], v[56:57]
	v_fma_f64 v[58:59], -0.5, v[8:9], v[156:157]
	v_add_f64 v[0:1], v[0:1], -v[6:7]
	v_add_f64 v[4:5], v[10:11], -v[74:75]
	;; [unrolled: 1-line block ×3, first 2 shown]
	v_fma_f64 v[62:63], s[0:1], v[0:1], v[58:59]
	v_fmac_f64_e32 v[58:59], s[12:13], v[0:1]
	v_add_f64 v[4:5], v[4:5], v[52:53]
	v_fmac_f64_e32 v[62:63], s[14:15], v[2:3]
	v_fmac_f64_e32 v[58:59], s[8:9], v[2:3]
	;; [unrolled: 1-line block ×4, first 2 shown]
	v_add_f64 v[4:5], v[74:75], -v[10:11]
	v_add_f64 v[6:7], v[56:57], -v[70:71]
	v_add_f64 v[4:5], v[4:5], v[6:7]
	v_add_f64 v[6:7], v[10:11], v[70:71]
	v_fma_f64 v[52:53], -0.5, v[6:7], v[156:157]
	v_fma_f64 v[66:67], s[12:13], v[2:3], v[52:53]
	v_fmac_f64_e32 v[52:53], s[0:1], v[2:3]
	v_fmac_f64_e32 v[66:67], s[14:15], v[0:1]
	;; [unrolled: 1-line block ×3, first 2 shown]
	v_add_f64 v[0:1], v[156:157], v[74:75]
	v_add_f64 v[0:1], v[0:1], v[10:11]
	v_add_f64 v[0:1], v[0:1], v[70:71]
	v_add_f64 v[70:71], v[0:1], v[56:57]
	v_accvgpr_read_b32 v0, a12
	v_mul_u32_u24_e32 v0, 0x41, v0
	v_accvgpr_read_b32 v1, a13
	v_add_u32_sdwa v0, v0, v1 dst_sel:DWORD dst_unused:UNUSED_PAD src0_sel:DWORD src1_sel:BYTE_0
	v_lshl_add_u32 v0, v0, 4, v211
	v_fmac_f64_e32 v[66:67], s[10:11], v[4:5]
	v_fmac_f64_e32 v[52:53], s[10:11], v[4:5]
	ds_write_b128 v0, v[70:73]
	ds_write_b128 v0, v[52:55] offset:208
	ds_write_b128 v0, v[58:61] offset:416
	;; [unrolled: 1-line block ×4, first 2 shown]
.LBB0_9:
	s_or_b64 exec, exec, s[16:17]
	s_waitcnt lgkmcnt(0)
	s_barrier
	ds_read_b128 v[56:59], v209
	ds_read_b128 v[52:55], v209 offset:1040
	ds_read_b128 v[66:69], v209 offset:2080
	;; [unrolled: 1-line block ×12, first 2 shown]
	s_waitcnt lgkmcnt(9)
	v_mul_f64 v[8:9], v[114:115], v[70:71]
	v_fma_f64 v[92:93], v[112:113], v[72:73], -v[8:9]
	s_waitcnt lgkmcnt(8)
	v_mul_f64 v[8:9], v[110:111], v[74:75]
	v_fma_f64 v[84:85], v[108:109], v[76:77], -v[8:9]
	s_waitcnt lgkmcnt(7)
	v_mul_f64 v[8:9], v[138:139], v[78:79]
	v_mul_f64 v[6:7], v[118:119], v[66:67]
	;; [unrolled: 1-line block ×3, first 2 shown]
	v_fma_f64 v[76:77], v[136:137], v[80:81], -v[8:9]
	s_waitcnt lgkmcnt(6)
	v_mul_f64 v[8:9], v[134:135], v[86:87]
	v_mul_f64 v[0:1], v[122:123], v[54:55]
	;; [unrolled: 1-line block ×3, first 2 shown]
	v_fma_f64 v[6:7], v[116:117], v[68:69], -v[6:7]
	v_fma_f64 v[68:69], v[132:133], v[88:89], -v[8:9]
	s_waitcnt lgkmcnt(5)
	v_mul_f64 v[8:9], v[130:131], v[94:95]
	v_fmac_f64_e32 v[0:1], v[120:121], v[52:53]
	v_mul_f64 v[2:3], v[122:123], v[52:53]
	v_mul_f64 v[90:91], v[114:115], v[72:73]
	v_fmac_f64_e32 v[82:83], v[108:109], v[74:75]
	v_mul_f64 v[74:75], v[138:139], v[80:81]
	v_fma_f64 v[72:73], v[128:129], v[96:97], -v[8:9]
	s_waitcnt lgkmcnt(4)
	v_mul_f64 v[8:9], v[126:127], v[98:99]
	s_waitcnt lgkmcnt(0)
	v_mul_f64 v[52:53], v[142:143], v[164:165]
	v_fma_f64 v[2:3], v[120:121], v[54:55], -v[2:3]
	v_fmac_f64_e32 v[4:5], v[116:117], v[66:67]
	v_fmac_f64_e32 v[74:75], v[136:137], v[78:79]
	v_mul_f64 v[78:79], v[126:127], v[100:101]
	v_fma_f64 v[80:81], v[124:125], v[100:101], -v[8:9]
	v_fma_f64 v[100:101], v[140:141], v[166:167], -v[52:53]
	v_add_f64 v[52:53], v[56:57], v[0:1]
	v_fmac_f64_e32 v[90:91], v[112:113], v[70:71]
	v_add_f64 v[54:55], v[58:59], v[2:3]
	v_add_f64 v[52:53], v[52:53], v[4:5]
	;; [unrolled: 1-line block ×4, first 2 shown]
	v_mul_f64 v[66:67], v[134:135], v[88:89]
	v_add_f64 v[54:55], v[54:55], v[92:93]
	v_add_f64 v[52:53], v[52:53], v[82:83]
	v_fmac_f64_e32 v[66:67], v[132:133], v[86:87]
	v_mul_f64 v[70:71], v[130:131], v[96:97]
	v_add_f64 v[54:55], v[54:55], v[84:85]
	v_add_f64 v[52:53], v[52:53], v[74:75]
	v_fmac_f64_e32 v[70:71], v[128:129], v[94:95]
	v_add_f64 v[54:55], v[54:55], v[76:77]
	v_add_f64 v[52:53], v[52:53], v[66:67]
	v_fmac_f64_e32 v[78:79], v[124:125], v[98:99]
	v_mul_f64 v[86:87], v[154:155], v[104:105]
	v_mul_f64 v[8:9], v[154:155], v[102:103]
	v_add_f64 v[54:55], v[54:55], v[68:69]
	v_add_f64 v[52:53], v[52:53], v[70:71]
	v_fmac_f64_e32 v[86:87], v[152:153], v[102:103]
	v_fma_f64 v[88:89], v[152:153], v[104:105], -v[8:9]
	v_mul_f64 v[94:95], v[150:151], v[158:159]
	v_mul_f64 v[8:9], v[150:151], v[156:157]
	v_add_f64 v[54:55], v[54:55], v[72:73]
	v_add_f64 v[52:53], v[52:53], v[78:79]
	v_mov_b32_e32 v60, s2
	v_mov_b32_e32 v61, s3
	v_mad_u64_u32 v[62:63], s[0:1], s6, v210, 0
	v_fmac_f64_e32 v[94:95], v[148:149], v[156:157]
	v_fma_f64 v[96:97], v[148:149], v[158:159], -v[8:9]
	v_mul_f64 v[8:9], v[146:147], v[162:163]
	v_mul_f64 v[98:99], v[142:143], v[166:167]
	v_add_f64 v[54:55], v[54:55], v[80:81]
	v_add_f64 v[52:53], v[52:53], v[86:87]
	s_mov_b32 s18, 0xe00740e9
	s_mov_b32 s12, 0x1ea71119
	;; [unrolled: 1-line block ×6, first 2 shown]
	v_fmac_f64_e32 v[8:9], v[144:145], v[160:161]
	v_mul_f64 v[10:11], v[146:147], v[160:161]
	v_fmac_f64_e32 v[98:99], v[140:141], v[164:165]
	v_add_f64 v[54:55], v[54:55], v[88:89]
	v_add_f64 v[52:53], v[52:53], v[94:95]
	;; [unrolled: 1-line block ×3, first 2 shown]
	s_mov_b32 s16, 0x4267c47c
	s_mov_b32 s19, 0x3fec55a7
	;; [unrolled: 1-line block ×12, first 2 shown]
	v_fma_f64 v[10:11], v[144:145], v[162:163], -v[10:11]
	v_add_f64 v[54:55], v[54:55], v[96:97]
	v_add_f64 v[52:53], v[52:53], v[8:9]
	;; [unrolled: 1-line block ×3, first 2 shown]
	v_add_f64 v[0:1], v[0:1], -v[98:99]
	v_add_f64 v[2:3], v[2:3], -v[100:101]
	s_mov_b32 s17, 0xbfddbe06
	v_mul_f64 v[106:107], v[104:105], s[18:19]
	s_mov_b32 s21, 0x3fddbe06
	s_mov_b32 s20, s16
	s_mov_b32 s11, 0xbfea55e2
	v_mul_f64 v[114:115], v[104:105], s[12:13]
	s_mov_b32 s15, 0x3fea55e2
	s_mov_b32 s14, s10
	;; [unrolled: 4-line block ×6, first 2 shown]
	v_add_f64 v[54:55], v[54:55], v[10:11]
	v_add_f64 v[52:53], v[52:53], v[98:99]
	v_mul_f64 v[98:99], v[2:3], s[16:17]
	v_fma_f64 v[108:109], s[20:21], v[0:1], v[106:107]
	v_fmac_f64_e32 v[106:107], s[16:17], v[0:1]
	v_mul_f64 v[110:111], v[2:3], s[10:11]
	v_fma_f64 v[116:117], s[14:15], v[0:1], v[114:115]
	v_fmac_f64_e32 v[114:115], s[10:11], v[0:1]
	;; [unrolled: 3-line block ×6, first 2 shown]
	v_add_f64 v[54:55], v[54:55], v[100:101]
	v_fma_f64 v[100:101], s[18:19], v[102:103], v[98:99]
	v_add_f64 v[108:109], v[58:59], v[108:109]
	v_fma_f64 v[98:99], v[102:103], s[18:19], -v[98:99]
	v_add_f64 v[106:107], v[58:59], v[106:107]
	v_fma_f64 v[112:113], s[12:13], v[102:103], v[110:111]
	v_add_f64 v[116:117], v[58:59], v[116:117]
	v_fma_f64 v[110:111], v[102:103], s[12:13], -v[110:111]
	v_add_f64 v[114:115], v[58:59], v[114:115]
	v_fma_f64 v[120:121], s[2:3], v[102:103], v[118:119]
	v_add_f64 v[124:125], v[58:59], v[124:125]
	v_fma_f64 v[118:119], v[102:103], s[2:3], -v[118:119]
	v_add_f64 v[122:123], v[58:59], v[122:123]
	v_fma_f64 v[128:129], s[24:25], v[102:103], v[126:127]
	v_add_f64 v[132:133], v[58:59], v[132:133]
	v_fma_f64 v[126:127], v[102:103], s[24:25], -v[126:127]
	v_add_f64 v[130:131], v[58:59], v[130:131]
	v_fma_f64 v[136:137], s[30:31], v[102:103], v[134:135]
	v_add_f64 v[140:141], v[58:59], v[140:141]
	v_fma_f64 v[134:135], v[102:103], s[30:31], -v[134:135]
	v_add_f64 v[138:139], v[58:59], v[138:139]
	v_fma_f64 v[142:143], s[38:39], v[102:103], v[2:3]
	v_add_f64 v[144:145], v[58:59], v[144:145]
	v_fma_f64 v[2:3], v[102:103], s[38:39], -v[2:3]
	v_add_f64 v[0:1], v[58:59], v[104:105]
	v_add_f64 v[58:59], v[6:7], v[10:11]
	v_add_f64 v[6:7], v[6:7], -v[10:11]
	v_add_f64 v[100:101], v[56:57], v[100:101]
	v_add_f64 v[98:99], v[56:57], v[98:99]
	;; [unrolled: 1-line block ×13, first 2 shown]
	v_add_f64 v[4:5], v[4:5], -v[8:9]
	v_mul_f64 v[8:9], v[6:7], s[10:11]
	v_fma_f64 v[10:11], s[12:13], v[56:57], v[8:9]
	v_add_f64 v[10:11], v[10:11], v[100:101]
	v_mul_f64 v[100:101], v[58:59], s[12:13]
	v_fma_f64 v[102:103], s[14:15], v[4:5], v[100:101]
	v_fma_f64 v[8:9], v[56:57], s[12:13], -v[8:9]
	v_fmac_f64_e32 v[100:101], s[10:11], v[4:5]
	v_add_f64 v[8:9], v[8:9], v[98:99]
	v_add_f64 v[98:99], v[100:101], v[106:107]
	v_mul_f64 v[100:101], v[6:7], s[22:23]
	v_fma_f64 v[104:105], s[24:25], v[56:57], v[100:101]
	v_mul_f64 v[106:107], v[58:59], s[24:25]
	v_fma_f64 v[100:101], v[56:57], s[24:25], -v[100:101]
	v_add_f64 v[102:103], v[102:103], v[108:109]
	v_fma_f64 v[108:109], s[26:27], v[4:5], v[106:107]
	v_add_f64 v[100:101], v[100:101], v[110:111]
	v_fmac_f64_e32 v[106:107], s[22:23], v[4:5]
	v_mul_f64 v[110:111], v[6:7], s[36:37]
	v_add_f64 v[104:105], v[104:105], v[112:113]
	v_add_f64 v[106:107], v[106:107], v[114:115]
	v_fma_f64 v[112:113], s[38:39], v[56:57], v[110:111]
	v_mul_f64 v[114:115], v[58:59], s[38:39]
	v_fma_f64 v[110:111], v[56:57], s[38:39], -v[110:111]
	v_add_f64 v[108:109], v[108:109], v[116:117]
	v_fma_f64 v[116:117], s[40:41], v[4:5], v[114:115]
	v_add_f64 v[110:111], v[110:111], v[118:119]
	v_fmac_f64_e32 v[114:115], s[36:37], v[4:5]
	v_mul_f64 v[118:119], v[6:7], s[34:35]
	v_add_f64 v[112:113], v[112:113], v[120:121]
	v_add_f64 v[114:115], v[114:115], v[122:123]
	;; [unrolled: 10-line block ×3, first 2 shown]
	v_fma_f64 v[128:129], s[2:3], v[56:57], v[126:127]
	v_mul_f64 v[130:131], v[58:59], s[2:3]
	v_mul_f64 v[58:59], v[58:59], s[18:19]
	v_add_f64 v[128:129], v[128:129], v[136:137]
	v_fma_f64 v[136:137], s[16:17], v[4:5], v[58:59]
	v_fmac_f64_e32 v[58:59], s[20:21], v[4:5]
	v_fma_f64 v[126:127], v[56:57], s[2:3], -v[126:127]
	v_mul_f64 v[6:7], v[6:7], s[20:21]
	v_add_f64 v[0:1], v[58:59], v[0:1]
	v_add_f64 v[58:59], v[92:93], -v[96:97]
	v_add_f64 v[124:125], v[124:125], v[132:133]
	v_fma_f64 v[132:133], s[0:1], v[4:5], v[130:131]
	v_add_f64 v[126:127], v[126:127], v[134:135]
	v_fmac_f64_e32 v[130:131], s[8:9], v[4:5]
	v_fma_f64 v[134:135], s[18:19], v[56:57], v[6:7]
	v_fma_f64 v[6:7], v[56:57], s[18:19], -v[6:7]
	v_add_f64 v[4:5], v[90:91], v[94:95]
	v_add_f64 v[56:57], v[90:91], -v[94:95]
	v_mul_f64 v[90:91], v[58:59], s[0:1]
	v_add_f64 v[2:3], v[6:7], v[2:3]
	v_add_f64 v[6:7], v[92:93], v[96:97]
	v_fma_f64 v[92:93], s[2:3], v[4:5], v[90:91]
	v_add_f64 v[10:11], v[92:93], v[10:11]
	v_mul_f64 v[92:93], v[6:7], s[2:3]
	v_fma_f64 v[94:95], s[8:9], v[56:57], v[92:93]
	v_fma_f64 v[90:91], v[4:5], s[2:3], -v[90:91]
	v_fmac_f64_e32 v[92:93], s[0:1], v[56:57]
	v_add_f64 v[8:9], v[90:91], v[8:9]
	v_add_f64 v[90:91], v[92:93], v[98:99]
	v_mul_f64 v[92:93], v[58:59], s[36:37]
	v_fma_f64 v[96:97], s[38:39], v[4:5], v[92:93]
	v_fma_f64 v[92:93], v[4:5], s[38:39], -v[92:93]
	v_mul_f64 v[98:99], v[6:7], s[38:39]
	v_add_f64 v[92:93], v[92:93], v[100:101]
	v_mul_f64 v[100:101], v[58:59], s[26:27]
	v_add_f64 v[94:95], v[94:95], v[102:103]
	v_add_f64 v[96:97], v[96:97], v[104:105]
	v_fma_f64 v[102:103], s[40:41], v[56:57], v[98:99]
	v_fmac_f64_e32 v[98:99], s[36:37], v[56:57]
	v_fma_f64 v[104:105], s[24:25], v[4:5], v[100:101]
	v_fma_f64 v[100:101], v[4:5], s[24:25], -v[100:101]
	v_add_f64 v[98:99], v[98:99], v[106:107]
	v_mul_f64 v[106:107], v[6:7], s[24:25]
	v_add_f64 v[100:101], v[100:101], v[110:111]
	v_mul_f64 v[110:111], v[58:59], s[20:21]
	v_add_f64 v[102:103], v[102:103], v[108:109]
	v_add_f64 v[104:105], v[104:105], v[112:113]
	v_fma_f64 v[108:109], s[22:23], v[56:57], v[106:107]
	v_fmac_f64_e32 v[106:107], s[26:27], v[56:57]
	v_fma_f64 v[112:113], s[18:19], v[4:5], v[110:111]
	v_fma_f64 v[110:111], v[4:5], s[18:19], -v[110:111]
	v_add_f64 v[106:107], v[106:107], v[114:115]
	v_mul_f64 v[114:115], v[6:7], s[18:19]
	v_add_f64 v[110:111], v[110:111], v[118:119]
	v_mul_f64 v[118:119], v[58:59], s[10:11]
	v_add_f64 v[108:109], v[108:109], v[116:117]
	v_add_f64 v[112:113], v[112:113], v[120:121]
	v_fma_f64 v[116:117], s[16:17], v[56:57], v[114:115]
	v_fmac_f64_e32 v[114:115], s[20:21], v[56:57]
	v_fma_f64 v[120:121], s[12:13], v[4:5], v[118:119]
	v_fma_f64 v[118:119], v[4:5], s[12:13], -v[118:119]
	v_mul_f64 v[58:59], v[58:59], s[28:29]
	v_add_f64 v[114:115], v[114:115], v[122:123]
	v_mul_f64 v[122:123], v[6:7], s[12:13]
	v_add_f64 v[118:119], v[118:119], v[126:127]
	v_fma_f64 v[126:127], s[30:31], v[4:5], v[58:59]
	v_mul_f64 v[6:7], v[6:7], s[30:31]
	v_fma_f64 v[4:5], v[4:5], s[30:31], -v[58:59]
	v_add_f64 v[58:59], v[84:85], -v[88:89]
	v_add_f64 v[116:117], v[116:117], v[124:125]
	v_add_f64 v[120:121], v[120:121], v[128:129]
	v_fma_f64 v[124:125], s[14:15], v[56:57], v[122:123]
	v_fmac_f64_e32 v[122:123], s[10:11], v[56:57]
	v_fma_f64 v[128:129], s[34:35], v[56:57], v[6:7]
	v_add_f64 v[2:3], v[4:5], v[2:3]
	v_fmac_f64_e32 v[6:7], s[28:29], v[56:57]
	v_add_f64 v[4:5], v[82:83], v[86:87]
	v_add_f64 v[56:57], v[82:83], -v[86:87]
	v_mul_f64 v[82:83], v[58:59], s[22:23]
	v_add_f64 v[0:1], v[6:7], v[0:1]
	v_add_f64 v[6:7], v[84:85], v[88:89]
	v_fma_f64 v[84:85], s[24:25], v[4:5], v[82:83]
	v_add_f64 v[10:11], v[84:85], v[10:11]
	v_mul_f64 v[84:85], v[6:7], s[24:25]
	v_fma_f64 v[86:87], s[26:27], v[56:57], v[84:85]
	v_fma_f64 v[82:83], v[4:5], s[24:25], -v[82:83]
	v_fmac_f64_e32 v[84:85], s[22:23], v[56:57]
	v_add_f64 v[8:9], v[82:83], v[8:9]
	v_add_f64 v[82:83], v[84:85], v[90:91]
	v_mul_f64 v[84:85], v[58:59], s[34:35]
	v_fma_f64 v[88:89], s[30:31], v[4:5], v[84:85]
	v_fma_f64 v[84:85], v[4:5], s[30:31], -v[84:85]
	v_mul_f64 v[90:91], v[6:7], s[30:31]
	v_add_f64 v[84:85], v[84:85], v[92:93]
	v_mul_f64 v[92:93], v[58:59], s[20:21]
	v_add_f64 v[86:87], v[86:87], v[94:95]
	v_add_f64 v[88:89], v[88:89], v[96:97]
	v_fma_f64 v[94:95], s[28:29], v[56:57], v[90:91]
	v_fmac_f64_e32 v[90:91], s[34:35], v[56:57]
	v_fma_f64 v[96:97], s[18:19], v[4:5], v[92:93]
	v_fma_f64 v[92:93], v[4:5], s[18:19], -v[92:93]
	v_add_f64 v[90:91], v[90:91], v[98:99]
	v_mul_f64 v[98:99], v[6:7], s[18:19]
	v_add_f64 v[92:93], v[92:93], v[100:101]
	v_mul_f64 v[100:101], v[58:59], s[0:1]
	v_add_f64 v[94:95], v[94:95], v[102:103]
	v_add_f64 v[96:97], v[96:97], v[104:105]
	v_fma_f64 v[102:103], s[16:17], v[56:57], v[98:99]
	v_fmac_f64_e32 v[98:99], s[20:21], v[56:57]
	v_fma_f64 v[104:105], s[2:3], v[4:5], v[100:101]
	v_fma_f64 v[100:101], v[4:5], s[2:3], -v[100:101]
	v_add_f64 v[98:99], v[98:99], v[106:107]
	v_mul_f64 v[106:107], v[6:7], s[2:3]
	v_add_f64 v[100:101], v[100:101], v[110:111]
	v_mul_f64 v[110:111], v[58:59], s[40:41]
	v_add_f64 v[102:103], v[102:103], v[108:109]
	v_add_f64 v[104:105], v[104:105], v[112:113]
	v_fma_f64 v[108:109], s[8:9], v[56:57], v[106:107]
	v_fmac_f64_e32 v[106:107], s[0:1], v[56:57]
	v_fma_f64 v[112:113], s[38:39], v[4:5], v[110:111]
	v_fma_f64 v[110:111], v[4:5], s[38:39], -v[110:111]
	v_mul_f64 v[58:59], v[58:59], s[14:15]
	v_add_f64 v[106:107], v[106:107], v[114:115]
	v_mul_f64 v[114:115], v[6:7], s[38:39]
	v_add_f64 v[110:111], v[110:111], v[118:119]
	v_fma_f64 v[118:119], s[12:13], v[4:5], v[58:59]
	v_mul_f64 v[6:7], v[6:7], s[12:13]
	v_fma_f64 v[4:5], v[4:5], s[12:13], -v[58:59]
	v_add_f64 v[58:59], v[76:77], -v[80:81]
	v_add_f64 v[108:109], v[108:109], v[116:117]
	v_add_f64 v[112:113], v[112:113], v[120:121]
	v_fma_f64 v[116:117], s[36:37], v[56:57], v[114:115]
	v_fmac_f64_e32 v[114:115], s[40:41], v[56:57]
	v_fma_f64 v[120:121], s[10:11], v[56:57], v[6:7]
	v_add_f64 v[2:3], v[4:5], v[2:3]
	v_fmac_f64_e32 v[6:7], s[14:15], v[56:57]
	v_add_f64 v[4:5], v[74:75], v[78:79]
	v_add_f64 v[56:57], v[74:75], -v[78:79]
	v_mul_f64 v[74:75], v[58:59], s[28:29]
	v_add_f64 v[0:1], v[6:7], v[0:1]
	v_add_f64 v[6:7], v[76:77], v[80:81]
	v_fma_f64 v[76:77], s[30:31], v[4:5], v[74:75]
	v_add_f64 v[10:11], v[76:77], v[10:11]
	v_mul_f64 v[76:77], v[6:7], s[30:31]
	v_fma_f64 v[78:79], s[34:35], v[56:57], v[76:77]
	v_fma_f64 v[74:75], v[4:5], s[30:31], -v[74:75]
	v_fmac_f64_e32 v[76:77], s[28:29], v[56:57]
	v_add_f64 v[8:9], v[74:75], v[8:9]
	v_add_f64 v[74:75], v[76:77], v[82:83]
	v_mul_f64 v[76:77], v[58:59], s[8:9]
	v_mul_f64 v[82:83], v[6:7], s[2:3]
	v_add_f64 v[78:79], v[78:79], v[86:87]
	v_fma_f64 v[80:81], s[2:3], v[4:5], v[76:77]
	v_fma_f64 v[86:87], s[0:1], v[56:57], v[82:83]
	v_fma_f64 v[76:77], v[4:5], s[2:3], -v[76:77]
	v_fmac_f64_e32 v[82:83], s[8:9], v[56:57]
	v_add_f64 v[76:77], v[76:77], v[84:85]
	v_add_f64 v[82:83], v[82:83], v[90:91]
	v_mul_f64 v[84:85], v[58:59], s[10:11]
	v_mul_f64 v[90:91], v[6:7], s[12:13]
	v_add_f64 v[80:81], v[80:81], v[88:89]
	v_add_f64 v[86:87], v[86:87], v[94:95]
	v_fma_f64 v[88:89], s[12:13], v[4:5], v[84:85]
	v_fma_f64 v[94:95], s[14:15], v[56:57], v[90:91]
	v_fma_f64 v[84:85], v[4:5], s[12:13], -v[84:85]
	v_fmac_f64_e32 v[90:91], s[10:11], v[56:57]
	v_add_f64 v[84:85], v[84:85], v[92:93]
	v_add_f64 v[90:91], v[90:91], v[98:99]
	v_mul_f64 v[92:93], v[58:59], s[40:41]
	v_mul_f64 v[98:99], v[6:7], s[38:39]
	v_add_f64 v[132:133], v[132:133], v[140:141]
	v_add_f64 v[88:89], v[88:89], v[96:97]
	;; [unrolled: 1-line block ×3, first 2 shown]
	v_fma_f64 v[96:97], s[38:39], v[4:5], v[92:93]
	v_fma_f64 v[102:103], s[36:37], v[56:57], v[98:99]
	v_fma_f64 v[92:93], v[4:5], s[38:39], -v[92:93]
	v_fmac_f64_e32 v[98:99], s[40:41], v[56:57]
	v_add_f64 v[130:131], v[130:131], v[138:139]
	v_add_f64 v[124:125], v[124:125], v[132:133]
	;; [unrolled: 1-line block ×4, first 2 shown]
	v_mul_f64 v[100:101], v[58:59], s[20:21]
	v_mul_f64 v[106:107], v[6:7], s[18:19]
	v_add_f64 v[122:123], v[122:123], v[130:131]
	v_add_f64 v[116:117], v[116:117], v[124:125]
	;; [unrolled: 1-line block ×4, first 2 shown]
	v_fma_f64 v[104:105], s[18:19], v[4:5], v[100:101]
	v_fma_f64 v[108:109], s[16:17], v[56:57], v[106:107]
	v_fma_f64 v[100:101], v[4:5], s[18:19], -v[100:101]
	v_mul_f64 v[58:59], v[58:59], s[22:23]
	v_add_f64 v[114:115], v[114:115], v[122:123]
	v_add_f64 v[108:109], v[108:109], v[116:117]
	;; [unrolled: 1-line block ×3, first 2 shown]
	v_fmac_f64_e32 v[106:107], s[20:21], v[56:57]
	v_fma_f64 v[110:111], s[24:25], v[4:5], v[58:59]
	v_mul_f64 v[6:7], v[6:7], s[24:25]
	v_fma_f64 v[4:5], v[4:5], s[24:25], -v[58:59]
	v_add_f64 v[116:117], v[68:69], -v[72:73]
	v_add_f64 v[104:105], v[104:105], v[112:113]
	v_add_f64 v[106:107], v[106:107], v[114:115]
	v_fma_f64 v[112:113], s[26:27], v[56:57], v[6:7]
	v_add_f64 v[2:3], v[4:5], v[2:3]
	v_fmac_f64_e32 v[6:7], s[22:23], v[56:57]
	v_add_f64 v[4:5], v[66:67], v[70:71]
	v_add_f64 v[114:115], v[66:67], -v[70:71]
	v_mul_f64 v[66:67], v[116:117], s[36:37]
	v_add_f64 v[0:1], v[6:7], v[0:1]
	v_add_f64 v[6:7], v[68:69], v[72:73]
	v_fma_f64 v[56:57], s[38:39], v[4:5], v[66:67]
	v_add_f64 v[56:57], v[56:57], v[10:11]
	v_mul_f64 v[10:11], v[6:7], s[38:39]
	v_fma_f64 v[66:67], v[4:5], s[38:39], -v[66:67]
	v_fma_f64 v[58:59], s[40:41], v[114:115], v[10:11]
	v_add_f64 v[66:67], v[66:67], v[8:9]
	v_fmac_f64_e32 v[10:11], s[36:37], v[114:115]
	v_mul_f64 v[8:9], v[116:117], s[20:21]
	v_add_f64 v[68:69], v[10:11], v[74:75]
	v_fma_f64 v[10:11], s[18:19], v[4:5], v[8:9]
	v_add_f64 v[70:71], v[10:11], v[80:81]
	v_mul_f64 v[10:11], v[6:7], s[18:19]
	v_fma_f64 v[8:9], v[4:5], s[18:19], -v[8:9]
	v_fma_f64 v[72:73], s[16:17], v[114:115], v[10:11]
	v_add_f64 v[74:75], v[8:9], v[76:77]
	v_fmac_f64_e32 v[10:11], s[20:21], v[114:115]
	v_mul_f64 v[8:9], v[116:117], s[28:29]
	v_add_f64 v[76:77], v[10:11], v[82:83]
	v_fma_f64 v[10:11], s[30:31], v[4:5], v[8:9]
	v_add_f64 v[58:59], v[58:59], v[78:79]
	v_add_f64 v[78:79], v[10:11], v[88:89]
	v_mul_f64 v[10:11], v[6:7], s[30:31]
	v_fma_f64 v[8:9], v[4:5], s[30:31], -v[8:9]
	v_fma_f64 v[80:81], s[34:35], v[114:115], v[10:11]
	v_add_f64 v[82:83], v[8:9], v[84:85]
	v_fmac_f64_e32 v[10:11], s[28:29], v[114:115]
	v_mul_f64 v[8:9], v[116:117], s[14:15]
	v_add_f64 v[84:85], v[10:11], v[90:91]
	v_fma_f64 v[10:11], s[12:13], v[4:5], v[8:9]
	v_add_f64 v[72:73], v[72:73], v[86:87]
	v_add_f64 v[86:87], v[10:11], v[96:97]
	v_mul_f64 v[10:11], v[6:7], s[12:13]
	v_fma_f64 v[8:9], v[4:5], s[12:13], -v[8:9]
	v_fma_f64 v[88:89], s[10:11], v[114:115], v[10:11]
	v_add_f64 v[90:91], v[8:9], v[92:93]
	v_fmac_f64_e32 v[10:11], s[14:15], v[114:115]
	v_mul_f64 v[8:9], v[116:117], s[22:23]
	v_add_f64 v[134:135], v[134:135], v[142:143]
	v_add_f64 v[92:93], v[10:11], v[98:99]
	v_fma_f64 v[10:11], s[24:25], v[4:5], v[8:9]
	v_add_f64 v[136:137], v[136:137], v[144:145]
	v_add_f64 v[126:127], v[126:127], v[134:135]
	;; [unrolled: 1-line block ×4, first 2 shown]
	v_mul_f64 v[10:11], v[6:7], s[24:25]
	v_fma_f64 v[8:9], v[4:5], s[24:25], -v[8:9]
	v_add_f64 v[128:129], v[128:129], v[136:137]
	v_add_f64 v[118:119], v[118:119], v[126:127]
	v_fma_f64 v[96:97], s[26:27], v[114:115], v[10:11]
	v_add_f64 v[98:99], v[8:9], v[100:101]
	v_fmac_f64_e32 v[10:11], s[22:23], v[114:115]
	v_mul_f64 v[8:9], v[116:117], s[8:9]
	v_add_f64 v[120:121], v[120:121], v[128:129]
	v_add_f64 v[110:111], v[110:111], v[118:119]
	v_add_f64 v[100:101], v[10:11], v[106:107]
	v_fma_f64 v[10:11], s[2:3], v[4:5], v[8:9]
	v_mul_f64 v[6:7], v[6:7], s[2:3]
	v_add_f64 v[112:113], v[112:113], v[120:121]
	v_add_f64 v[88:89], v[88:89], v[102:103]
	;; [unrolled: 1-line block ×3, first 2 shown]
	v_fma_f64 v[10:11], s[0:1], v[114:115], v[6:7]
	v_fma_f64 v[4:5], v[4:5], s[2:3], -v[8:9]
	v_fmac_f64_e32 v[6:7], s[8:9], v[114:115]
	v_add_f64 v[96:97], v[96:97], v[108:109]
	v_add_f64 v[104:105], v[10:11], v[112:113]
	;; [unrolled: 1-line block ×4, first 2 shown]
	ds_write_b128 v209, v[52:55]
	ds_write_b128 v209, v[56:59] offset:1040
	ds_write_b128 v209, v[70:73] offset:2080
	;; [unrolled: 1-line block ×12, first 2 shown]
	s_waitcnt lgkmcnt(0)
	s_barrier
	ds_read_b128 v[52:55], v209
	ds_read_b128 v[56:59], v209 offset:1040
	v_mov_b32_e32 v64, v63
	v_accvgpr_read_b32 v2, a4
	v_mad_u64_u32 v[0:1], s[0:1], s7, v210, v[64:65]
	v_accvgpr_read_b32 v4, a6
	v_accvgpr_read_b32 v5, a7
	v_mov_b32_e32 v63, v0
	v_accvgpr_read_b32 v3, a5
	s_waitcnt lgkmcnt(1)
	v_mul_f64 v[0:1], v[4:5], v[54:55]
	s_mov_b32 s0, 0x622898b1
	v_fmac_f64_e32 v[0:1], v[2:3], v[52:53]
	s_mov_b32 s1, 0x3f5363ac
	v_mul_f64 v[64:65], v[0:1], s[0:1]
	v_mul_f64 v[0:1], v[4:5], v[52:53]
	v_fma_f64 v[0:1], v[2:3], v[54:55], -v[0:1]
	v_mul_f64 v[66:67], v[0:1], s[0:1]
	v_mad_u64_u32 v[0:1], s[2:3], s4, v208, 0
	v_mov_b32_e32 v2, v1
	v_mad_u64_u32 v[2:3], s[2:3], s5, v208, v[2:3]
	v_accvgpr_read_b32 v9, a3
	v_mov_b32_e32 v1, v2
	v_lshl_add_u64 v[2:3], v[62:63], 4, v[60:61]
	v_accvgpr_read_b32 v8, a2
	v_lshl_add_u64 v[0:1], v[0:1], 4, v[2:3]
	v_accvgpr_read_b32 v7, a1
	v_accvgpr_read_b32 v6, a0
	s_waitcnt lgkmcnt(0)
	v_mul_f64 v[2:3], v[8:9], v[58:59]
	v_fmac_f64_e32 v[2:3], v[6:7], v[56:57]
	v_mul_f64 v[4:5], v[2:3], s[0:1]
	v_mul_f64 v[2:3], v[8:9], v[56:57]
	v_fma_f64 v[2:3], v[6:7], v[58:59], -v[2:3]
	v_mov_b32_e32 v56, 0x410
	global_store_dwordx4 v[0:1], v[64:67], off
	v_mul_f64 v[6:7], v[2:3], s[0:1]
	v_mad_u64_u32 v[8:9], s[2:3], s4, v56, v[0:1]
	ds_read_b128 v[0:3], v209 offset:2080
	s_mul_i32 s2, s5, 0x410
	v_add_u32_e32 v9, s2, v9
	global_store_dwordx4 v[8:9], v[4:7], off
	ds_read_b128 v[4:7], v209 offset:3120
	s_waitcnt lgkmcnt(1)
	v_mul_f64 v[10:11], v[14:15], v[2:3]
	v_fmac_f64_e32 v[10:11], v[12:13], v[0:1]
	v_mul_f64 v[0:1], v[14:15], v[0:1]
	v_mul_f64 v[52:53], v[10:11], s[0:1]
	v_fma_f64 v[0:1], v[12:13], v[2:3], -v[0:1]
	v_accvgpr_read_b32 v13, a11
	v_accvgpr_read_b32 v12, a10
	v_mul_f64 v[54:55], v[0:1], s[0:1]
	v_mad_u64_u32 v[8:9], s[6:7], s4, v56, v[8:9]
	v_accvgpr_read_b32 v11, a9
	v_accvgpr_read_b32 v10, a8
	s_waitcnt lgkmcnt(0)
	v_mul_f64 v[0:1], v[12:13], v[6:7]
	v_mul_f64 v[2:3], v[12:13], v[4:5]
	v_add_u32_e32 v9, s2, v9
	v_fmac_f64_e32 v[0:1], v[10:11], v[4:5]
	v_fma_f64 v[2:3], v[10:11], v[6:7], -v[2:3]
	ds_read_b128 v[4:7], v209 offset:4160
	v_mad_u64_u32 v[12:13], s[6:7], s4, v56, v[8:9]
	v_mul_f64 v[0:1], v[0:1], s[0:1]
	v_mul_f64 v[2:3], v[2:3], s[0:1]
	v_add_u32_e32 v13, s2, v13
	global_store_dwordx4 v[8:9], v[52:55], off
	global_store_dwordx4 v[12:13], v[0:3], off
	ds_read_b128 v[0:3], v209 offset:5200
	s_waitcnt lgkmcnt(1)
	v_mul_f64 v[8:9], v[26:27], v[6:7]
	v_fmac_f64_e32 v[8:9], v[24:25], v[4:5]
	v_mul_f64 v[4:5], v[26:27], v[4:5]
	v_fma_f64 v[4:5], v[24:25], v[6:7], -v[4:5]
	v_mul_f64 v[10:11], v[4:5], s[0:1]
	s_waitcnt lgkmcnt(0)
	v_mul_f64 v[4:5], v[18:19], v[2:3]
	v_fmac_f64_e32 v[4:5], v[16:17], v[0:1]
	v_mul_f64 v[0:1], v[18:19], v[0:1]
	v_mad_u64_u32 v[12:13], s[6:7], s4, v56, v[12:13]
	v_fma_f64 v[0:1], v[16:17], v[2:3], -v[0:1]
	v_mul_f64 v[8:9], v[8:9], s[0:1]
	v_add_u32_e32 v13, s2, v13
	v_mul_f64 v[6:7], v[0:1], s[0:1]
	ds_read_b128 v[0:3], v209 offset:6240
	global_store_dwordx4 v[12:13], v[8:11], off
	v_mad_u64_u32 v[12:13], s[6:7], s4, v56, v[12:13]
	v_mul_f64 v[4:5], v[4:5], s[0:1]
	v_add_u32_e32 v13, s2, v13
	global_store_dwordx4 v[12:13], v[4:7], off
	ds_read_b128 v[4:7], v209 offset:7280
	s_waitcnt lgkmcnt(1)
	v_mul_f64 v[8:9], v[30:31], v[2:3]
	v_fmac_f64_e32 v[8:9], v[28:29], v[0:1]
	v_mul_f64 v[0:1], v[30:31], v[0:1]
	v_fma_f64 v[0:1], v[28:29], v[2:3], -v[0:1]
	v_mul_f64 v[10:11], v[0:1], s[0:1]
	v_mad_u64_u32 v[12:13], s[6:7], s4, v56, v[12:13]
	s_waitcnt lgkmcnt(0)
	v_mul_f64 v[0:1], v[22:23], v[6:7]
	v_mul_f64 v[2:3], v[22:23], v[4:5]
	v_mul_f64 v[8:9], v[8:9], s[0:1]
	v_add_u32_e32 v13, s2, v13
	v_fmac_f64_e32 v[0:1], v[20:21], v[4:5]
	v_fma_f64 v[2:3], v[20:21], v[6:7], -v[2:3]
	ds_read_b128 v[4:7], v209 offset:8320
	global_store_dwordx4 v[12:13], v[8:11], off
	v_mad_u64_u32 v[12:13], s[6:7], s4, v56, v[12:13]
	v_mul_f64 v[0:1], v[0:1], s[0:1]
	v_mul_f64 v[2:3], v[2:3], s[0:1]
	v_add_u32_e32 v13, s2, v13
	global_store_dwordx4 v[12:13], v[0:3], off
	ds_read_b128 v[0:3], v209 offset:9360
	s_waitcnt lgkmcnt(1)
	v_mul_f64 v[8:9], v[42:43], v[6:7]
	v_fmac_f64_e32 v[8:9], v[40:41], v[4:5]
	v_mul_f64 v[4:5], v[42:43], v[4:5]
	v_fma_f64 v[4:5], v[40:41], v[6:7], -v[4:5]
	v_mul_f64 v[10:11], v[4:5], s[0:1]
	s_waitcnt lgkmcnt(0)
	v_mul_f64 v[4:5], v[34:35], v[2:3]
	v_fmac_f64_e32 v[4:5], v[32:33], v[0:1]
	v_mul_f64 v[0:1], v[34:35], v[0:1]
	v_mad_u64_u32 v[12:13], s[6:7], s4, v56, v[12:13]
	v_fma_f64 v[0:1], v[32:33], v[2:3], -v[0:1]
	v_mul_f64 v[8:9], v[8:9], s[0:1]
	v_add_u32_e32 v13, s2, v13
	v_mul_f64 v[6:7], v[0:1], s[0:1]
	ds_read_b128 v[0:3], v209 offset:10400
	global_store_dwordx4 v[12:13], v[8:11], off
	v_mad_u64_u32 v[12:13], s[6:7], s4, v56, v[12:13]
	v_mul_f64 v[4:5], v[4:5], s[0:1]
	v_add_u32_e32 v13, s2, v13
	global_store_dwordx4 v[12:13], v[4:7], off
	ds_read_b128 v[4:7], v209 offset:11440
	s_waitcnt lgkmcnt(1)
	v_mul_f64 v[8:9], v[50:51], v[2:3]
	v_fmac_f64_e32 v[8:9], v[48:49], v[0:1]
	v_mul_f64 v[0:1], v[50:51], v[0:1]
	v_fma_f64 v[0:1], v[48:49], v[2:3], -v[0:1]
	v_mul_f64 v[10:11], v[0:1], s[0:1]
	s_waitcnt lgkmcnt(0)
	v_mul_f64 v[0:1], v[38:39], v[6:7]
	v_mul_f64 v[2:3], v[38:39], v[4:5]
	v_fmac_f64_e32 v[0:1], v[36:37], v[4:5]
	v_fma_f64 v[2:3], v[36:37], v[6:7], -v[2:3]
	ds_read_b128 v[4:7], v209 offset:12480
	v_mad_u64_u32 v[12:13], s[6:7], s4, v56, v[12:13]
	v_mul_f64 v[8:9], v[8:9], s[0:1]
	v_add_u32_e32 v13, s2, v13
	global_store_dwordx4 v[12:13], v[8:11], off
	v_mul_f64 v[0:1], v[0:1], s[0:1]
	v_mul_f64 v[2:3], v[2:3], s[0:1]
	v_mad_u64_u32 v[8:9], s[6:7], s4, v56, v[12:13]
	v_add_u32_e32 v9, s2, v9
	global_store_dwordx4 v[8:9], v[0:3], off
	s_waitcnt lgkmcnt(0)
	s_nop 0
	v_mul_f64 v[0:1], v[46:47], v[6:7]
	v_mul_f64 v[2:3], v[46:47], v[4:5]
	v_fmac_f64_e32 v[0:1], v[44:45], v[4:5]
	v_fma_f64 v[2:3], v[44:45], v[6:7], -v[2:3]
	v_mul_f64 v[0:1], v[0:1], s[0:1]
	v_mul_f64 v[2:3], v[2:3], s[0:1]
	v_mad_u64_u32 v[4:5], s[0:1], s4, v56, v[8:9]
	v_add_u32_e32 v5, s2, v5
	global_store_dwordx4 v[4:5], v[0:3], off
.LBB0_10:
	s_endpgm
	.section	.rodata,"a",@progbits
	.p2align	6, 0x0
	.amdhsa_kernel bluestein_single_back_len845_dim1_dp_op_CI_CI
		.amdhsa_group_segment_fixed_size 40560
		.amdhsa_private_segment_fixed_size 0
		.amdhsa_kernarg_size 104
		.amdhsa_user_sgpr_count 2
		.amdhsa_user_sgpr_dispatch_ptr 0
		.amdhsa_user_sgpr_queue_ptr 0
		.amdhsa_user_sgpr_kernarg_segment_ptr 1
		.amdhsa_user_sgpr_dispatch_id 0
		.amdhsa_user_sgpr_kernarg_preload_length 0
		.amdhsa_user_sgpr_kernarg_preload_offset 0
		.amdhsa_user_sgpr_private_segment_size 0
		.amdhsa_uses_dynamic_stack 0
		.amdhsa_enable_private_segment 0
		.amdhsa_system_sgpr_workgroup_id_x 1
		.amdhsa_system_sgpr_workgroup_id_y 0
		.amdhsa_system_sgpr_workgroup_id_z 0
		.amdhsa_system_sgpr_workgroup_info 0
		.amdhsa_system_vgpr_workitem_id 0
		.amdhsa_next_free_vgpr 270
		.amdhsa_next_free_sgpr 46
		.amdhsa_accum_offset 256
		.amdhsa_reserve_vcc 1
		.amdhsa_float_round_mode_32 0
		.amdhsa_float_round_mode_16_64 0
		.amdhsa_float_denorm_mode_32 3
		.amdhsa_float_denorm_mode_16_64 3
		.amdhsa_dx10_clamp 1
		.amdhsa_ieee_mode 1
		.amdhsa_fp16_overflow 0
		.amdhsa_tg_split 0
		.amdhsa_exception_fp_ieee_invalid_op 0
		.amdhsa_exception_fp_denorm_src 0
		.amdhsa_exception_fp_ieee_div_zero 0
		.amdhsa_exception_fp_ieee_overflow 0
		.amdhsa_exception_fp_ieee_underflow 0
		.amdhsa_exception_fp_ieee_inexact 0
		.amdhsa_exception_int_div_zero 0
	.end_amdhsa_kernel
	.text
.Lfunc_end0:
	.size	bluestein_single_back_len845_dim1_dp_op_CI_CI, .Lfunc_end0-bluestein_single_back_len845_dim1_dp_op_CI_CI
                                        ; -- End function
	.section	.AMDGPU.csdata,"",@progbits
; Kernel info:
; codeLenInByte = 22488
; NumSgprs: 52
; NumVgprs: 256
; NumAgprs: 14
; TotalNumVgprs: 270
; ScratchSize: 0
; MemoryBound: 0
; FloatMode: 240
; IeeeMode: 1
; LDSByteSize: 40560 bytes/workgroup (compile time only)
; SGPRBlocks: 6
; VGPRBlocks: 33
; NumSGPRsForWavesPerEU: 52
; NumVGPRsForWavesPerEU: 270
; AccumOffset: 256
; Occupancy: 1
; WaveLimiterHint : 1
; COMPUTE_PGM_RSRC2:SCRATCH_EN: 0
; COMPUTE_PGM_RSRC2:USER_SGPR: 2
; COMPUTE_PGM_RSRC2:TRAP_HANDLER: 0
; COMPUTE_PGM_RSRC2:TGID_X_EN: 1
; COMPUTE_PGM_RSRC2:TGID_Y_EN: 0
; COMPUTE_PGM_RSRC2:TGID_Z_EN: 0
; COMPUTE_PGM_RSRC2:TIDIG_COMP_CNT: 0
; COMPUTE_PGM_RSRC3_GFX90A:ACCUM_OFFSET: 63
; COMPUTE_PGM_RSRC3_GFX90A:TG_SPLIT: 0
	.text
	.p2alignl 6, 3212836864
	.fill 256, 4, 3212836864
	.type	__hip_cuid_1dc02b19c5cc882b,@object ; @__hip_cuid_1dc02b19c5cc882b
	.section	.bss,"aw",@nobits
	.globl	__hip_cuid_1dc02b19c5cc882b
__hip_cuid_1dc02b19c5cc882b:
	.byte	0                               ; 0x0
	.size	__hip_cuid_1dc02b19c5cc882b, 1

	.ident	"AMD clang version 19.0.0git (https://github.com/RadeonOpenCompute/llvm-project roc-6.4.0 25133 c7fe45cf4b819c5991fe208aaa96edf142730f1d)"
	.section	".note.GNU-stack","",@progbits
	.addrsig
	.addrsig_sym __hip_cuid_1dc02b19c5cc882b
	.amdgpu_metadata
---
amdhsa.kernels:
  - .agpr_count:     14
    .args:
      - .actual_access:  read_only
        .address_space:  global
        .offset:         0
        .size:           8
        .value_kind:     global_buffer
      - .actual_access:  read_only
        .address_space:  global
        .offset:         8
        .size:           8
        .value_kind:     global_buffer
      - .actual_access:  read_only
        .address_space:  global
        .offset:         16
        .size:           8
        .value_kind:     global_buffer
      - .actual_access:  read_only
        .address_space:  global
        .offset:         24
        .size:           8
        .value_kind:     global_buffer
      - .actual_access:  read_only
        .address_space:  global
        .offset:         32
        .size:           8
        .value_kind:     global_buffer
      - .offset:         40
        .size:           8
        .value_kind:     by_value
      - .address_space:  global
        .offset:         48
        .size:           8
        .value_kind:     global_buffer
      - .address_space:  global
        .offset:         56
        .size:           8
        .value_kind:     global_buffer
      - .address_space:  global
        .offset:         64
        .size:           8
        .value_kind:     global_buffer
      - .address_space:  global
        .offset:         72
        .size:           8
        .value_kind:     global_buffer
      - .offset:         80
        .size:           4
        .value_kind:     by_value
      - .address_space:  global
        .offset:         88
        .size:           8
        .value_kind:     global_buffer
      - .address_space:  global
        .offset:         96
        .size:           8
        .value_kind:     global_buffer
    .group_segment_fixed_size: 40560
    .kernarg_segment_align: 8
    .kernarg_segment_size: 104
    .language:       OpenCL C
    .language_version:
      - 2
      - 0
    .max_flat_workgroup_size: 195
    .name:           bluestein_single_back_len845_dim1_dp_op_CI_CI
    .private_segment_fixed_size: 0
    .sgpr_count:     52
    .sgpr_spill_count: 0
    .symbol:         bluestein_single_back_len845_dim1_dp_op_CI_CI.kd
    .uniform_work_group_size: 1
    .uses_dynamic_stack: false
    .vgpr_count:     270
    .vgpr_spill_count: 0
    .wavefront_size: 64
amdhsa.target:   amdgcn-amd-amdhsa--gfx950
amdhsa.version:
  - 1
  - 2
...

	.end_amdgpu_metadata
